;; amdgpu-corpus repo=ROCm/rocFFT kind=compiled arch=gfx1100 opt=O3
	.text
	.amdgcn_target "amdgcn-amd-amdhsa--gfx1100"
	.amdhsa_code_object_version 6
	.protected	fft_rtc_back_len4050_factors_10_5_3_3_3_3_wgs_135_tpt_135_halfLds_sp_ip_CI_unitstride_sbrr_C2R_dirReg ; -- Begin function fft_rtc_back_len4050_factors_10_5_3_3_3_3_wgs_135_tpt_135_halfLds_sp_ip_CI_unitstride_sbrr_C2R_dirReg
	.globl	fft_rtc_back_len4050_factors_10_5_3_3_3_3_wgs_135_tpt_135_halfLds_sp_ip_CI_unitstride_sbrr_C2R_dirReg
	.p2align	8
	.type	fft_rtc_back_len4050_factors_10_5_3_3_3_3_wgs_135_tpt_135_halfLds_sp_ip_CI_unitstride_sbrr_C2R_dirReg,@function
fft_rtc_back_len4050_factors_10_5_3_3_3_3_wgs_135_tpt_135_halfLds_sp_ip_CI_unitstride_sbrr_C2R_dirReg: ; @fft_rtc_back_len4050_factors_10_5_3_3_3_3_wgs_135_tpt_135_halfLds_sp_ip_CI_unitstride_sbrr_C2R_dirReg
; %bb.0:
	s_clause 0x2
	s_load_b128 s[4:7], s[0:1], 0x0
	s_load_b64 s[8:9], s[0:1], 0x50
	s_load_b64 s[10:11], s[0:1], 0x18
	v_mul_u32_u24_e32 v1, 0x1e6, v0
	v_mov_b32_e32 v3, 0
	v_mov_b32_e32 v4, 0
	s_delay_alu instid0(VALU_DEP_3) | instskip(SKIP_1) | instid1(VALU_DEP_1)
	v_lshrrev_b32_e32 v2, 16, v1
	v_mov_b32_e32 v1, 0
	v_dual_mov_b32 v6, v1 :: v_dual_add_nc_u32 v5, s15, v2
	s_waitcnt lgkmcnt(0)
	v_cmp_lt_u64_e64 s2, s[6:7], 2
	s_delay_alu instid0(VALU_DEP_1)
	s_and_b32 vcc_lo, exec_lo, s2
	s_cbranch_vccnz .LBB0_8
; %bb.1:
	s_load_b64 s[2:3], s[0:1], 0x10
	v_mov_b32_e32 v3, 0
	s_add_u32 s12, s10, 8
	v_mov_b32_e32 v4, 0
	s_addc_u32 s13, s11, 0
	s_mov_b64 s[16:17], 1
	s_waitcnt lgkmcnt(0)
	s_add_u32 s14, s2, 8
	s_addc_u32 s15, s3, 0
.LBB0_2:                                ; =>This Inner Loop Header: Depth=1
	s_load_b64 s[18:19], s[14:15], 0x0
                                        ; implicit-def: $vgpr7_vgpr8
	s_mov_b32 s2, exec_lo
	s_waitcnt lgkmcnt(0)
	v_or_b32_e32 v2, s19, v6
	s_delay_alu instid0(VALU_DEP_1)
	v_cmpx_ne_u64_e32 0, v[1:2]
	s_xor_b32 s3, exec_lo, s2
	s_cbranch_execz .LBB0_4
; %bb.3:                                ;   in Loop: Header=BB0_2 Depth=1
	v_cvt_f32_u32_e32 v2, s18
	v_cvt_f32_u32_e32 v7, s19
	s_sub_u32 s2, 0, s18
	s_subb_u32 s20, 0, s19
	s_delay_alu instid0(VALU_DEP_1) | instskip(NEXT) | instid1(VALU_DEP_1)
	v_fmac_f32_e32 v2, 0x4f800000, v7
	v_rcp_f32_e32 v2, v2
	s_waitcnt_depctr 0xfff
	v_mul_f32_e32 v2, 0x5f7ffffc, v2
	s_delay_alu instid0(VALU_DEP_1) | instskip(NEXT) | instid1(VALU_DEP_1)
	v_mul_f32_e32 v7, 0x2f800000, v2
	v_trunc_f32_e32 v7, v7
	s_delay_alu instid0(VALU_DEP_1) | instskip(SKIP_1) | instid1(VALU_DEP_2)
	v_fmac_f32_e32 v2, 0xcf800000, v7
	v_cvt_u32_f32_e32 v7, v7
	v_cvt_u32_f32_e32 v2, v2
	s_delay_alu instid0(VALU_DEP_2) | instskip(NEXT) | instid1(VALU_DEP_2)
	v_mul_lo_u32 v8, s2, v7
	v_mul_hi_u32 v9, s2, v2
	v_mul_lo_u32 v10, s20, v2
	s_delay_alu instid0(VALU_DEP_2) | instskip(SKIP_1) | instid1(VALU_DEP_2)
	v_add_nc_u32_e32 v8, v9, v8
	v_mul_lo_u32 v9, s2, v2
	v_add_nc_u32_e32 v8, v8, v10
	s_delay_alu instid0(VALU_DEP_2) | instskip(NEXT) | instid1(VALU_DEP_2)
	v_mul_hi_u32 v10, v2, v9
	v_mul_lo_u32 v11, v2, v8
	v_mul_hi_u32 v12, v2, v8
	v_mul_hi_u32 v13, v7, v9
	v_mul_lo_u32 v9, v7, v9
	v_mul_hi_u32 v14, v7, v8
	v_mul_lo_u32 v8, v7, v8
	v_add_co_u32 v10, vcc_lo, v10, v11
	v_add_co_ci_u32_e32 v11, vcc_lo, 0, v12, vcc_lo
	s_delay_alu instid0(VALU_DEP_2) | instskip(NEXT) | instid1(VALU_DEP_2)
	v_add_co_u32 v9, vcc_lo, v10, v9
	v_add_co_ci_u32_e32 v9, vcc_lo, v11, v13, vcc_lo
	v_add_co_ci_u32_e32 v10, vcc_lo, 0, v14, vcc_lo
	s_delay_alu instid0(VALU_DEP_2) | instskip(NEXT) | instid1(VALU_DEP_2)
	v_add_co_u32 v8, vcc_lo, v9, v8
	v_add_co_ci_u32_e32 v9, vcc_lo, 0, v10, vcc_lo
	s_delay_alu instid0(VALU_DEP_2) | instskip(NEXT) | instid1(VALU_DEP_2)
	v_add_co_u32 v2, vcc_lo, v2, v8
	v_add_co_ci_u32_e32 v7, vcc_lo, v7, v9, vcc_lo
	s_delay_alu instid0(VALU_DEP_2) | instskip(SKIP_1) | instid1(VALU_DEP_3)
	v_mul_hi_u32 v8, s2, v2
	v_mul_lo_u32 v10, s20, v2
	v_mul_lo_u32 v9, s2, v7
	s_delay_alu instid0(VALU_DEP_1) | instskip(SKIP_1) | instid1(VALU_DEP_2)
	v_add_nc_u32_e32 v8, v8, v9
	v_mul_lo_u32 v9, s2, v2
	v_add_nc_u32_e32 v8, v8, v10
	s_delay_alu instid0(VALU_DEP_2) | instskip(NEXT) | instid1(VALU_DEP_2)
	v_mul_hi_u32 v10, v2, v9
	v_mul_lo_u32 v11, v2, v8
	v_mul_hi_u32 v12, v2, v8
	v_mul_hi_u32 v13, v7, v9
	v_mul_lo_u32 v9, v7, v9
	v_mul_hi_u32 v14, v7, v8
	v_mul_lo_u32 v8, v7, v8
	v_add_co_u32 v10, vcc_lo, v10, v11
	v_add_co_ci_u32_e32 v11, vcc_lo, 0, v12, vcc_lo
	s_delay_alu instid0(VALU_DEP_2) | instskip(NEXT) | instid1(VALU_DEP_2)
	v_add_co_u32 v9, vcc_lo, v10, v9
	v_add_co_ci_u32_e32 v9, vcc_lo, v11, v13, vcc_lo
	v_add_co_ci_u32_e32 v10, vcc_lo, 0, v14, vcc_lo
	s_delay_alu instid0(VALU_DEP_2) | instskip(NEXT) | instid1(VALU_DEP_2)
	v_add_co_u32 v8, vcc_lo, v9, v8
	v_add_co_ci_u32_e32 v9, vcc_lo, 0, v10, vcc_lo
	s_delay_alu instid0(VALU_DEP_2) | instskip(NEXT) | instid1(VALU_DEP_2)
	v_add_co_u32 v2, vcc_lo, v2, v8
	v_add_co_ci_u32_e32 v13, vcc_lo, v7, v9, vcc_lo
	s_delay_alu instid0(VALU_DEP_2) | instskip(SKIP_1) | instid1(VALU_DEP_3)
	v_mul_hi_u32 v14, v5, v2
	v_mad_u64_u32 v[9:10], null, v6, v2, 0
	v_mad_u64_u32 v[7:8], null, v5, v13, 0
	;; [unrolled: 1-line block ×3, first 2 shown]
	s_delay_alu instid0(VALU_DEP_2) | instskip(NEXT) | instid1(VALU_DEP_3)
	v_add_co_u32 v2, vcc_lo, v14, v7
	v_add_co_ci_u32_e32 v7, vcc_lo, 0, v8, vcc_lo
	s_delay_alu instid0(VALU_DEP_2) | instskip(NEXT) | instid1(VALU_DEP_2)
	v_add_co_u32 v2, vcc_lo, v2, v9
	v_add_co_ci_u32_e32 v2, vcc_lo, v7, v10, vcc_lo
	v_add_co_ci_u32_e32 v7, vcc_lo, 0, v12, vcc_lo
	s_delay_alu instid0(VALU_DEP_2) | instskip(NEXT) | instid1(VALU_DEP_2)
	v_add_co_u32 v2, vcc_lo, v2, v11
	v_add_co_ci_u32_e32 v9, vcc_lo, 0, v7, vcc_lo
	s_delay_alu instid0(VALU_DEP_2) | instskip(SKIP_1) | instid1(VALU_DEP_3)
	v_mul_lo_u32 v10, s19, v2
	v_mad_u64_u32 v[7:8], null, s18, v2, 0
	v_mul_lo_u32 v11, s18, v9
	s_delay_alu instid0(VALU_DEP_2) | instskip(NEXT) | instid1(VALU_DEP_2)
	v_sub_co_u32 v7, vcc_lo, v5, v7
	v_add3_u32 v8, v8, v11, v10
	s_delay_alu instid0(VALU_DEP_1) | instskip(NEXT) | instid1(VALU_DEP_1)
	v_sub_nc_u32_e32 v10, v6, v8
	v_subrev_co_ci_u32_e64 v10, s2, s19, v10, vcc_lo
	v_add_co_u32 v11, s2, v2, 2
	s_delay_alu instid0(VALU_DEP_1) | instskip(SKIP_3) | instid1(VALU_DEP_3)
	v_add_co_ci_u32_e64 v12, s2, 0, v9, s2
	v_sub_co_u32 v13, s2, v7, s18
	v_sub_co_ci_u32_e32 v8, vcc_lo, v6, v8, vcc_lo
	v_subrev_co_ci_u32_e64 v10, s2, 0, v10, s2
	v_cmp_le_u32_e32 vcc_lo, s18, v13
	s_delay_alu instid0(VALU_DEP_3) | instskip(SKIP_1) | instid1(VALU_DEP_4)
	v_cmp_eq_u32_e64 s2, s19, v8
	v_cndmask_b32_e64 v13, 0, -1, vcc_lo
	v_cmp_le_u32_e32 vcc_lo, s19, v10
	v_cndmask_b32_e64 v14, 0, -1, vcc_lo
	v_cmp_le_u32_e32 vcc_lo, s18, v7
	;; [unrolled: 2-line block ×3, first 2 shown]
	v_cndmask_b32_e64 v15, 0, -1, vcc_lo
	v_cmp_eq_u32_e32 vcc_lo, s19, v10
	s_delay_alu instid0(VALU_DEP_2) | instskip(SKIP_3) | instid1(VALU_DEP_3)
	v_cndmask_b32_e64 v7, v15, v7, s2
	v_cndmask_b32_e32 v10, v14, v13, vcc_lo
	v_add_co_u32 v13, vcc_lo, v2, 1
	v_add_co_ci_u32_e32 v14, vcc_lo, 0, v9, vcc_lo
	v_cmp_ne_u32_e32 vcc_lo, 0, v10
	s_delay_alu instid0(VALU_DEP_2) | instskip(NEXT) | instid1(VALU_DEP_4)
	v_cndmask_b32_e32 v8, v14, v12, vcc_lo
	v_cndmask_b32_e32 v10, v13, v11, vcc_lo
	v_cmp_ne_u32_e32 vcc_lo, 0, v7
	s_delay_alu instid0(VALU_DEP_2)
	v_dual_cndmask_b32 v7, v2, v10 :: v_dual_cndmask_b32 v8, v9, v8
.LBB0_4:                                ;   in Loop: Header=BB0_2 Depth=1
	s_and_not1_saveexec_b32 s2, s3
	s_cbranch_execz .LBB0_6
; %bb.5:                                ;   in Loop: Header=BB0_2 Depth=1
	v_cvt_f32_u32_e32 v2, s18
	s_sub_i32 s3, 0, s18
	s_delay_alu instid0(VALU_DEP_1) | instskip(SKIP_2) | instid1(VALU_DEP_1)
	v_rcp_iflag_f32_e32 v2, v2
	s_waitcnt_depctr 0xfff
	v_mul_f32_e32 v2, 0x4f7ffffe, v2
	v_cvt_u32_f32_e32 v2, v2
	s_delay_alu instid0(VALU_DEP_1) | instskip(NEXT) | instid1(VALU_DEP_1)
	v_mul_lo_u32 v7, s3, v2
	v_mul_hi_u32 v7, v2, v7
	s_delay_alu instid0(VALU_DEP_1) | instskip(NEXT) | instid1(VALU_DEP_1)
	v_add_nc_u32_e32 v2, v2, v7
	v_mul_hi_u32 v2, v5, v2
	s_delay_alu instid0(VALU_DEP_1) | instskip(SKIP_1) | instid1(VALU_DEP_2)
	v_mul_lo_u32 v7, v2, s18
	v_add_nc_u32_e32 v8, 1, v2
	v_sub_nc_u32_e32 v7, v5, v7
	s_delay_alu instid0(VALU_DEP_1) | instskip(SKIP_1) | instid1(VALU_DEP_2)
	v_subrev_nc_u32_e32 v9, s18, v7
	v_cmp_le_u32_e32 vcc_lo, s18, v7
	v_dual_cndmask_b32 v7, v7, v9 :: v_dual_cndmask_b32 v2, v2, v8
	s_delay_alu instid0(VALU_DEP_1) | instskip(NEXT) | instid1(VALU_DEP_2)
	v_cmp_le_u32_e32 vcc_lo, s18, v7
	v_add_nc_u32_e32 v8, 1, v2
	s_delay_alu instid0(VALU_DEP_1)
	v_dual_cndmask_b32 v7, v2, v8 :: v_dual_mov_b32 v8, v1
.LBB0_6:                                ;   in Loop: Header=BB0_2 Depth=1
	s_or_b32 exec_lo, exec_lo, s2
	s_load_b64 s[2:3], s[12:13], 0x0
	s_delay_alu instid0(VALU_DEP_1) | instskip(NEXT) | instid1(VALU_DEP_2)
	v_mul_lo_u32 v2, v8, s18
	v_mul_lo_u32 v11, v7, s19
	v_mad_u64_u32 v[9:10], null, v7, s18, 0
	s_add_u32 s16, s16, 1
	s_addc_u32 s17, s17, 0
	s_add_u32 s12, s12, 8
	s_addc_u32 s13, s13, 0
	;; [unrolled: 2-line block ×3, first 2 shown]
	s_delay_alu instid0(VALU_DEP_1) | instskip(SKIP_1) | instid1(VALU_DEP_2)
	v_add3_u32 v2, v10, v11, v2
	v_sub_co_u32 v9, vcc_lo, v5, v9
	v_sub_co_ci_u32_e32 v2, vcc_lo, v6, v2, vcc_lo
	s_waitcnt lgkmcnt(0)
	s_delay_alu instid0(VALU_DEP_2) | instskip(NEXT) | instid1(VALU_DEP_2)
	v_mul_lo_u32 v10, s3, v9
	v_mul_lo_u32 v2, s2, v2
	v_mad_u64_u32 v[5:6], null, s2, v9, v[3:4]
	v_cmp_ge_u64_e64 s2, s[16:17], s[6:7]
	s_delay_alu instid0(VALU_DEP_1) | instskip(NEXT) | instid1(VALU_DEP_2)
	s_and_b32 vcc_lo, exec_lo, s2
	v_add3_u32 v4, v10, v6, v2
	s_delay_alu instid0(VALU_DEP_3)
	v_mov_b32_e32 v3, v5
	s_cbranch_vccnz .LBB0_9
; %bb.7:                                ;   in Loop: Header=BB0_2 Depth=1
	v_dual_mov_b32 v5, v7 :: v_dual_mov_b32 v6, v8
	s_branch .LBB0_2
.LBB0_8:
	v_dual_mov_b32 v8, v6 :: v_dual_mov_b32 v7, v5
.LBB0_9:
	s_lshl_b64 s[2:3], s[6:7], 3
	s_delay_alu instid0(SALU_CYCLE_1)
	s_add_u32 s2, s10, s2
	s_addc_u32 s3, s11, s3
	s_load_b64 s[2:3], s[2:3], 0x0
	s_load_b64 s[0:1], s[0:1], 0x20
	s_waitcnt lgkmcnt(0)
	v_mul_lo_u32 v5, s2, v8
	v_mul_lo_u32 v6, s3, v7
	v_mad_u64_u32 v[1:2], null, s2, v7, v[3:4]
	v_mul_hi_u32 v3, 0x1e573ad, v0
	v_cmp_gt_u64_e32 vcc_lo, s[0:1], v[7:8]
	s_delay_alu instid0(VALU_DEP_3) | instskip(NEXT) | instid1(VALU_DEP_3)
	v_add3_u32 v2, v6, v2, v5
	v_mul_u32_u24_e32 v3, 0x87, v3
	s_delay_alu instid0(VALU_DEP_2) | instskip(NEXT) | instid1(VALU_DEP_2)
	v_lshlrev_b64 v[62:63], 3, v[1:2]
	v_sub_nc_u32_e32 v60, v0, v3
	s_and_saveexec_b32 s1, vcc_lo
	s_cbranch_execz .LBB0_13
; %bb.10:
	s_delay_alu instid0(VALU_DEP_1) | instskip(SKIP_2) | instid1(VALU_DEP_1)
	v_lshl_add_u32 v66, v60, 3, 0
	v_mov_b32_e32 v61, 0
	v_add_co_u32 v0, s0, s8, v62
	v_add_co_ci_u32_e64 v1, s0, s9, v63, s0
	s_delay_alu instid0(VALU_DEP_4) | instskip(NEXT) | instid1(VALU_DEP_4)
	v_add_nc_u32_e32 v68, 0x1000, v66
	v_lshlrev_b64 v[2:3], 3, v[60:61]
	v_add_nc_u32_e32 v67, 0x800, v66
	v_add_nc_u32_e32 v69, 0x1800, v66
	;; [unrolled: 1-line block ×5, first 2 shown]
	v_add_co_u32 v2, s0, v0, v2
	s_delay_alu instid0(VALU_DEP_1) | instskip(SKIP_1) | instid1(VALU_DEP_3)
	v_add_co_ci_u32_e64 v3, s0, v1, v3, s0
	v_add_nc_u32_e32 v73, 0x3800, v66
	v_add_co_u32 v12, s0, 0x1000, v2
	s_delay_alu instid0(VALU_DEP_1) | instskip(SKIP_1) | instid1(VALU_DEP_1)
	v_add_co_ci_u32_e64 v13, s0, 0, v3, s0
	v_add_co_u32 v14, s0, 0x2000, v2
	v_add_co_ci_u32_e64 v15, s0, 0, v3, s0
	v_add_co_u32 v28, s0, 0x3000, v2
	s_delay_alu instid0(VALU_DEP_1) | instskip(SKIP_1) | instid1(VALU_DEP_1)
	v_add_co_ci_u32_e64 v29, s0, 0, v3, s0
	v_add_co_u32 v30, s0, 0x4000, v2
	v_add_co_ci_u32_e64 v31, s0, 0, v3, s0
	v_add_co_u32 v32, s0, 0x5000, v2
	s_delay_alu instid0(VALU_DEP_1) | instskip(SKIP_1) | instid1(VALU_DEP_1)
	v_add_co_ci_u32_e64 v33, s0, 0, v3, s0
	v_add_co_u32 v46, s0, 0x6000, v2
	v_add_co_ci_u32_e64 v47, s0, 0, v3, s0
	s_clause 0x3
	global_load_b64 v[4:5], v[2:3], off
	global_load_b64 v[6:7], v[2:3], off offset:1080
	global_load_b64 v[8:9], v[2:3], off offset:2160
	;; [unrolled: 1-line block ×3, first 2 shown]
	v_add_co_u32 v2, s0, 0x7000, v2
	s_delay_alu instid0(VALU_DEP_1)
	v_add_co_ci_u32_e64 v3, s0, 0, v3, s0
	s_clause 0x19
	global_load_b64 v[16:17], v[12:13], off offset:224
	global_load_b64 v[18:19], v[12:13], off offset:1304
	;; [unrolled: 1-line block ×26, first 2 shown]
	v_cmp_eq_u32_e64 s0, 0x86, v60
	v_add_nc_u32_e32 v74, 0x4000, v66
	v_add_nc_u32_e32 v75, 0x4a00, v66
	;; [unrolled: 1-line block ×7, first 2 shown]
	s_waitcnt vmcnt(28)
	ds_store_2addr_b64 v66, v[4:5], v[6:7] offset1:135
	s_waitcnt vmcnt(26)
	ds_store_2addr_b64 v67, v[8:9], v[10:11] offset0:14 offset1:149
	s_waitcnt vmcnt(24)
	ds_store_2addr_b64 v68, v[16:17], v[18:19] offset0:28 offset1:163
	;; [unrolled: 2-line block ×14, first 2 shown]
	s_and_saveexec_b32 s2, s0
	s_cbranch_execz .LBB0_12
; %bb.11:
	v_add_co_u32 v0, s0, 0x7000, v0
	s_delay_alu instid0(VALU_DEP_1)
	v_add_co_ci_u32_e64 v1, s0, 0, v1, s0
	v_mov_b32_e32 v60, 0x86
	global_load_b64 v[0:1], v[0:1], off offset:3728
	s_waitcnt vmcnt(0)
	ds_store_b64 v61, v[0:1] offset:32400
.LBB0_12:
	s_or_b32 exec_lo, exec_lo, s2
.LBB0_13:
	s_delay_alu instid0(SALU_CYCLE_1) | instskip(NEXT) | instid1(VALU_DEP_1)
	s_or_b32 exec_lo, exec_lo, s1
	v_lshlrev_b32_e32 v0, 3, v60
	s_waitcnt lgkmcnt(0)
	s_barrier
	buffer_gl0_inv
	s_add_u32 s1, s4, 0x7e40
	v_add_nc_u32_e32 v64, 0, v0
	v_sub_nc_u32_e32 v8, 0, v0
	s_addc_u32 s2, s5, 0
	s_mov_b32 s3, exec_lo
                                        ; implicit-def: $vgpr2_vgpr3
	ds_load_b32 v4, v64
	ds_load_b32 v5, v8 offset:32400
	s_waitcnt lgkmcnt(0)
	v_dual_sub_f32 v1, v4, v5 :: v_dual_add_f32 v0, v5, v4
	v_cmpx_ne_u32_e32 0, v60
	s_xor_b32 s3, exec_lo, s3
	s_cbranch_execz .LBB0_15
; %bb.14:
	v_dual_mov_b32 v61, 0 :: v_dual_add_f32 v6, v5, v4
	s_delay_alu instid0(VALU_DEP_1) | instskip(NEXT) | instid1(VALU_DEP_1)
	v_lshlrev_b64 v[0:1], 3, v[60:61]
	v_add_co_u32 v0, s0, s1, v0
	s_delay_alu instid0(VALU_DEP_1)
	v_add_co_ci_u32_e64 v1, s0, s2, v1, s0
	global_load_b64 v[2:3], v[0:1], off
	ds_load_b32 v0, v8 offset:32404
	ds_load_b32 v1, v64 offset:4
	v_sub_f32_e32 v7, v4, v5
	s_waitcnt lgkmcnt(0)
	v_dual_add_f32 v9, v0, v1 :: v_dual_sub_f32 v0, v1, v0
	s_waitcnt vmcnt(0)
	s_delay_alu instid0(VALU_DEP_1) | instskip(SKIP_3) | instid1(VALU_DEP_3)
	v_fma_f32 v1, v9, v3, v0
	v_fma_f32 v4, -v7, v3, v6
	v_fma_f32 v5, v9, v3, -v0
	v_fma_f32 v10, v7, v3, v6
	v_dual_fmac_f32 v1, v7, v2 :: v_dual_fmac_f32 v4, v2, v9
	s_delay_alu instid0(VALU_DEP_3) | instskip(NEXT) | instid1(VALU_DEP_3)
	v_fmac_f32_e32 v5, v7, v2
	v_fma_f32 v0, -v2, v9, v10
	v_dual_mov_b32 v2, v60 :: v_dual_mov_b32 v3, v61
	ds_store_b64 v8, v[4:5] offset:32400
.LBB0_15:
	s_and_not1_saveexec_b32 s0, s3
	s_cbranch_execz .LBB0_17
; %bb.16:
	v_mov_b32_e32 v6, 0
	ds_load_b64 v[2:3], v6 offset:16200
	s_waitcnt lgkmcnt(0)
	v_dual_mul_f32 v5, -2.0, v3 :: v_dual_add_f32 v4, v2, v2
	v_mov_b32_e32 v2, 0
	v_mov_b32_e32 v3, 0
	ds_store_b64 v6, v[4:5] offset:16200
.LBB0_17:
	s_or_b32 exec_lo, exec_lo, s0
	v_lshlrev_b64 v[2:3], 3, v[2:3]
	v_add_nc_u32_e32 v82, 0x10e, v60
	v_and_b32_e32 v83, 0xff, v60
	v_add_nc_u32_e32 v81, 0x87, v60
	v_add_nc_u32_e32 v65, 0x4a00, v64
	;; [unrolled: 1-line block ×3, first 2 shown]
	v_add_co_u32 v2, s0, s1, v2
	s_delay_alu instid0(VALU_DEP_1) | instskip(SKIP_1) | instid1(VALU_DEP_3)
	v_add_co_ci_u32_e64 v3, s0, s2, v3, s0
	v_add_nc_u32_e32 v77, 0x7400, v64
	v_add_co_u32 v11, s0, 0x1000, v2
	s_clause 0x2
	global_load_b64 v[4:5], v[2:3], off offset:1080
	global_load_b64 v[6:7], v[2:3], off offset:2160
	global_load_b64 v[9:10], v[2:3], off offset:3240
	v_add_co_ci_u32_e64 v12, s0, 0, v3, s0
	v_add_co_u32 v19, s0, 0x2000, v2
	s_clause 0x3
	global_load_b64 v[13:14], v[11:12], off offset:224
	global_load_b64 v[15:16], v[11:12], off offset:1304
	;; [unrolled: 1-line block ×4, first 2 shown]
	ds_store_b64 v64, v[0:1]
	ds_load_b64 v[0:1], v64 offset:1080
	ds_load_b64 v[21:22], v8 offset:31320
	v_add_co_ci_u32_e64 v20, s0, 0, v3, s0
	v_add_nc_u32_e32 v68, 0x3000, v64
	v_add_nc_u32_e32 v66, 0x2000, v64
	;; [unrolled: 1-line block ×3, first 2 shown]
	global_load_b64 v[23:24], v[19:20], off offset:448
	v_add_nc_u32_e32 v72, 0x5400, v64
	v_add_nc_u32_e32 v74, 0x1000, v64
	;; [unrolled: 1-line block ×4, first 2 shown]
	s_waitcnt lgkmcnt(0)
	v_dual_add_f32 v25, v0, v21 :: v_dual_add_nc_u32 v80, 0x21c, v60
	v_sub_f32_e32 v27, v0, v21
	v_add_f32_e32 v26, v22, v1
	v_sub_f32_e32 v0, v1, v22
	s_waitcnt vmcnt(7)
	s_delay_alu instid0(VALU_DEP_1) | instskip(SKIP_2) | instid1(VALU_DEP_3)
	v_fma_f32 v1, v26, v5, v0
	v_fma_f32 v28, v27, v5, v25
	v_fma_f32 v21, -v27, v5, v25
	v_fmac_f32_e32 v1, v27, v4
	v_fma_f32 v22, v26, v5, -v0
	s_delay_alu instid0(VALU_DEP_4) | instskip(NEXT) | instid1(VALU_DEP_2)
	v_fma_f32 v0, -v4, v26, v28
	v_dual_fmac_f32 v21, v4, v26 :: v_dual_fmac_f32 v22, v27, v4
	ds_store_b64 v64, v[0:1] offset:1080
	ds_store_b64 v8, v[21:22] offset:31320
	ds_load_b64 v[0:1], v64 offset:2160
	ds_load_b64 v[4:5], v8 offset:30240
	global_load_b64 v[21:22], v[19:20], off offset:1528
	s_waitcnt lgkmcnt(0)
	v_dual_add_f32 v25, v0, v4 :: v_dual_add_f32 v26, v5, v1
	v_dual_sub_f32 v27, v0, v4 :: v_dual_sub_f32 v0, v1, v5
	s_waitcnt vmcnt(7)
	s_delay_alu instid0(VALU_DEP_1) | instskip(NEXT) | instid1(VALU_DEP_2)
	v_fma_f32 v28, v27, v7, v25
	v_fma_f32 v1, v26, v7, v0
	v_fma_f32 v4, -v27, v7, v25
	v_fma_f32 v5, v26, v7, -v0
	s_delay_alu instid0(VALU_DEP_4) | instskip(NEXT) | instid1(VALU_DEP_4)
	v_fma_f32 v0, -v6, v26, v28
	v_fmac_f32_e32 v1, v27, v6
	s_delay_alu instid0(VALU_DEP_4) | instskip(NEXT) | instid1(VALU_DEP_4)
	v_fmac_f32_e32 v4, v6, v26
	v_fmac_f32_e32 v5, v27, v6
	ds_store_b64 v64, v[0:1] offset:2160
	ds_store_b64 v8, v[4:5] offset:30240
	ds_load_b64 v[0:1], v64 offset:3240
	ds_load_b64 v[4:5], v8 offset:29160
	global_load_b64 v[6:7], v[19:20], off offset:2608
	s_waitcnt lgkmcnt(0)
	v_dual_add_f32 v25, v0, v4 :: v_dual_add_f32 v26, v5, v1
	v_dual_sub_f32 v27, v0, v4 :: v_dual_sub_f32 v0, v1, v5
	s_waitcnt vmcnt(7)
	s_delay_alu instid0(VALU_DEP_1) | instskip(NEXT) | instid1(VALU_DEP_2)
	v_fma_f32 v28, v27, v10, v25
	v_fma_f32 v1, v26, v10, v0
	v_fma_f32 v4, -v27, v10, v25
	v_fma_f32 v5, v26, v10, -v0
	s_delay_alu instid0(VALU_DEP_4) | instskip(NEXT) | instid1(VALU_DEP_3)
	v_fma_f32 v0, -v9, v26, v28
	v_dual_fmac_f32 v1, v27, v9 :: v_dual_fmac_f32 v4, v9, v26
	s_delay_alu instid0(VALU_DEP_3)
	v_fmac_f32_e32 v5, v27, v9
	ds_store_b64 v64, v[0:1] offset:3240
	ds_store_b64 v8, v[4:5] offset:29160
	ds_load_b64 v[0:1], v64 offset:4320
	ds_load_b64 v[4:5], v8 offset:28080
	global_load_b64 v[9:10], v[19:20], off offset:3688
	s_waitcnt lgkmcnt(0)
	v_dual_add_f32 v19, v0, v4 :: v_dual_add_f32 v20, v5, v1
	v_dual_sub_f32 v25, v0, v4 :: v_dual_sub_f32 v0, v1, v5
	s_waitcnt vmcnt(7)
	s_delay_alu instid0(VALU_DEP_1) | instskip(NEXT) | instid1(VALU_DEP_2)
	v_fma_f32 v26, v25, v14, v19
	v_fma_f32 v1, v20, v14, v0
	v_fma_f32 v4, -v25, v14, v19
	v_fma_f32 v5, v20, v14, -v0
	s_delay_alu instid0(VALU_DEP_4) | instskip(NEXT) | instid1(VALU_DEP_4)
	v_fma_f32 v0, -v13, v20, v26
	v_fmac_f32_e32 v1, v25, v13
	s_delay_alu instid0(VALU_DEP_4) | instskip(NEXT) | instid1(VALU_DEP_4)
	v_fmac_f32_e32 v4, v13, v20
	v_fmac_f32_e32 v5, v25, v13
	v_add_co_u32 v13, s0, 0x3000, v2
	ds_store_b64 v64, v[0:1] offset:4320
	ds_store_b64 v8, v[4:5] offset:28080
	v_add_co_ci_u32_e64 v14, s0, 0, v3, s0
	ds_load_b64 v[0:1], v64 offset:5400
	ds_load_b64 v[2:3], v8 offset:27000
	v_cmp_gt_u32_e64 s0, 15, v60
	global_load_b64 v[4:5], v[13:14], off offset:672
	s_waitcnt lgkmcnt(0)
	v_dual_add_f32 v19, v0, v2 :: v_dual_add_f32 v20, v3, v1
	v_dual_sub_f32 v25, v0, v2 :: v_dual_sub_f32 v0, v1, v3
	s_waitcnt vmcnt(7)
	s_delay_alu instid0(VALU_DEP_1) | instskip(NEXT) | instid1(VALU_DEP_2)
	v_fma_f32 v26, v25, v16, v19
	v_fma_f32 v1, v20, v16, v0
	v_fma_f32 v2, -v25, v16, v19
	v_fma_f32 v3, v20, v16, -v0
	s_delay_alu instid0(VALU_DEP_4) | instskip(NEXT) | instid1(VALU_DEP_3)
	v_fma_f32 v0, -v15, v20, v26
	v_dual_fmac_f32 v1, v25, v15 :: v_dual_fmac_f32 v2, v15, v20
	s_delay_alu instid0(VALU_DEP_3)
	v_fmac_f32_e32 v3, v25, v15
	ds_store_b64 v64, v[0:1] offset:5400
	ds_store_b64 v8, v[2:3] offset:27000
	ds_load_b64 v[0:1], v64 offset:6480
	ds_load_b64 v[15:16], v8 offset:25920
	global_load_b64 v[2:3], v[13:14], off offset:1752
	s_waitcnt lgkmcnt(0)
	v_add_f32_e32 v20, v16, v1
	v_sub_f32_e32 v25, v0, v15
	v_dual_add_f32 v19, v0, v15 :: v_dual_sub_f32 v0, v1, v16
	s_waitcnt vmcnt(7)
	s_delay_alu instid0(VALU_DEP_1) | instskip(SKIP_1) | instid1(VALU_DEP_2)
	v_fma_f32 v16, v20, v18, -v0
	v_fma_f32 v1, v20, v18, v0
	v_fmac_f32_e32 v16, v25, v17
	v_fma_f32 v26, v25, v18, v19
	v_fma_f32 v15, -v25, v18, v19
	s_delay_alu instid0(VALU_DEP_4) | instskip(NEXT) | instid1(VALU_DEP_3)
	v_fmac_f32_e32 v1, v25, v17
	v_fma_f32 v0, -v17, v20, v26
	s_delay_alu instid0(VALU_DEP_3)
	v_fmac_f32_e32 v15, v17, v20
	ds_store_b64 v64, v[0:1] offset:6480
	ds_store_b64 v8, v[15:16] offset:25920
	ds_load_b64 v[15:16], v64 offset:7560
	ds_load_b64 v[17:18], v8 offset:24840
	global_load_b64 v[0:1], v[13:14], off offset:2832
	s_waitcnt lgkmcnt(0)
	v_dual_add_f32 v14, v15, v17 :: v_dual_add_f32 v19, v18, v16
	v_sub_f32_e32 v17, v15, v17
	v_sub_f32_e32 v15, v16, v18
	s_waitcnt vmcnt(7)
	s_delay_alu instid0(VALU_DEP_2) | instskip(NEXT) | instid1(VALU_DEP_2)
	v_fma_f32 v16, v17, v12, v14
	v_fma_f32 v13, v19, v12, v15
	v_fma_f32 v14, -v17, v12, v14
	v_fma_f32 v15, v19, v12, -v15
	s_delay_alu instid0(VALU_DEP_4) | instskip(NEXT) | instid1(VALU_DEP_4)
	v_fma_f32 v12, -v11, v19, v16
	v_fmac_f32_e32 v13, v17, v11
	s_delay_alu instid0(VALU_DEP_4) | instskip(NEXT) | instid1(VALU_DEP_4)
	v_fmac_f32_e32 v14, v11, v19
	v_fmac_f32_e32 v15, v17, v11
	ds_store_b64 v64, v[12:13] offset:7560
	ds_store_b64 v8, v[14:15] offset:24840
	ds_load_b64 v[11:12], v64 offset:8640
	ds_load_b64 v[13:14], v8 offset:23760
	s_waitcnt lgkmcnt(0)
	v_dual_add_f32 v15, v11, v13 :: v_dual_add_f32 v16, v14, v12
	v_sub_f32_e32 v17, v11, v13
	v_sub_f32_e32 v11, v12, v14
	s_waitcnt vmcnt(6)
	s_delay_alu instid0(VALU_DEP_2) | instskip(NEXT) | instid1(VALU_DEP_2)
	v_fma_f32 v18, v17, v24, v15
	v_fma_f32 v12, v16, v24, v11
	v_fma_f32 v13, -v17, v24, v15
	v_fma_f32 v14, v16, v24, -v11
	s_delay_alu instid0(VALU_DEP_4) | instskip(NEXT) | instid1(VALU_DEP_3)
	v_fma_f32 v11, -v23, v16, v18
	v_dual_fmac_f32 v12, v17, v23 :: v_dual_fmac_f32 v13, v23, v16
	s_delay_alu instid0(VALU_DEP_3)
	v_fmac_f32_e32 v14, v17, v23
	ds_store_b64 v64, v[11:12] offset:8640
	ds_store_b64 v8, v[13:14] offset:23760
	ds_load_b64 v[11:12], v64 offset:9720
	ds_load_b64 v[13:14], v8 offset:22680
	s_waitcnt lgkmcnt(0)
	v_dual_add_f32 v15, v11, v13 :: v_dual_add_f32 v16, v14, v12
	v_sub_f32_e32 v17, v11, v13
	v_sub_f32_e32 v11, v12, v14
	s_waitcnt vmcnt(5)
	s_delay_alu instid0(VALU_DEP_2) | instskip(NEXT) | instid1(VALU_DEP_2)
	v_fma_f32 v18, v17, v22, v15
	v_fma_f32 v12, v16, v22, v11
	v_fma_f32 v13, -v17, v22, v15
	v_fma_f32 v14, v16, v22, -v11
	s_delay_alu instid0(VALU_DEP_4) | instskip(NEXT) | instid1(VALU_DEP_4)
	v_fma_f32 v11, -v21, v16, v18
	v_fmac_f32_e32 v12, v17, v21
	s_delay_alu instid0(VALU_DEP_4) | instskip(NEXT) | instid1(VALU_DEP_4)
	v_fmac_f32_e32 v13, v21, v16
	v_fmac_f32_e32 v14, v17, v21
	ds_store_b64 v64, v[11:12] offset:9720
	ds_store_b64 v8, v[13:14] offset:22680
	ds_load_b64 v[11:12], v64 offset:10800
	ds_load_b64 v[13:14], v8 offset:21600
	s_waitcnt lgkmcnt(0)
	v_dual_add_f32 v15, v11, v13 :: v_dual_add_f32 v16, v14, v12
	v_sub_f32_e32 v17, v11, v13
	v_sub_f32_e32 v11, v12, v14
	s_waitcnt vmcnt(4)
	s_delay_alu instid0(VALU_DEP_2) | instskip(NEXT) | instid1(VALU_DEP_2)
	v_fma_f32 v18, v17, v7, v15
	v_fma_f32 v12, v16, v7, v11
	v_fma_f32 v13, -v17, v7, v15
	v_fma_f32 v14, v16, v7, -v11
	s_delay_alu instid0(VALU_DEP_4) | instskip(NEXT) | instid1(VALU_DEP_3)
	v_fma_f32 v11, -v6, v16, v18
	v_dual_fmac_f32 v12, v17, v6 :: v_dual_fmac_f32 v13, v6, v16
	s_delay_alu instid0(VALU_DEP_3)
	v_fmac_f32_e32 v14, v17, v6
	ds_store_b64 v64, v[11:12] offset:10800
	ds_store_b64 v8, v[13:14] offset:21600
	ds_load_b64 v[6:7], v64 offset:11880
	ds_load_b64 v[11:12], v8 offset:20520
	v_and_b32_e32 v17, 0xffff, v78
	s_delay_alu instid0(VALU_DEP_1) | instskip(NEXT) | instid1(VALU_DEP_1)
	v_mul_u32_u24_e32 v31, 0xcccd, v17
	v_lshrrev_b32_e32 v84, 19, v31
	s_delay_alu instid0(VALU_DEP_1)
	v_mul_lo_u16 v166, v84, 10
	s_waitcnt lgkmcnt(0)
	v_add_f32_e32 v13, v6, v11
	v_add_f32_e32 v14, v12, v7
	v_dual_sub_f32 v15, v6, v11 :: v_dual_sub_f32 v6, v7, v12
	s_waitcnt vmcnt(3)
	s_delay_alu instid0(VALU_DEP_1) | instskip(NEXT) | instid1(VALU_DEP_2)
	v_fma_f32 v16, v15, v10, v13
	v_fma_f32 v7, v14, v10, v6
	v_fma_f32 v11, -v15, v10, v13
	v_fma_f32 v12, v14, v10, -v6
	s_delay_alu instid0(VALU_DEP_4) | instskip(NEXT) | instid1(VALU_DEP_4)
	v_fma_f32 v6, -v9, v14, v16
	v_fmac_f32_e32 v7, v15, v9
	s_delay_alu instid0(VALU_DEP_3)
	v_dual_fmac_f32 v11, v9, v14 :: v_dual_fmac_f32 v12, v15, v9
	ds_store_b64 v64, v[6:7] offset:11880
	ds_store_b64 v8, v[11:12] offset:20520
	ds_load_b64 v[6:7], v64 offset:12960
	ds_load_b64 v[9:10], v8 offset:19440
	v_and_b32_e32 v15, 0xffff, v81
	s_waitcnt lgkmcnt(0)
	v_add_f32_e32 v11, v6, v9
	v_add_f32_e32 v12, v10, v7
	v_sub_f32_e32 v13, v6, v9
	v_sub_f32_e32 v7, v7, v10
	s_waitcnt vmcnt(2)
	s_delay_alu instid0(VALU_DEP_2) | instskip(NEXT) | instid1(VALU_DEP_2)
	v_fma_f32 v14, v13, v5, v11
	v_fma_f32 v6, v12, v5, v7
	v_fma_f32 v9, -v13, v5, v11
	v_fma_f32 v10, v12, v5, -v7
	s_delay_alu instid0(VALU_DEP_4) | instskip(NEXT) | instid1(VALU_DEP_4)
	v_fma_f32 v5, -v4, v12, v14
	v_fmac_f32_e32 v6, v13, v4
	s_delay_alu instid0(VALU_DEP_4) | instskip(NEXT) | instid1(VALU_DEP_4)
	v_fmac_f32_e32 v9, v4, v12
	v_fmac_f32_e32 v10, v13, v4
	ds_store_b64 v64, v[5:6] offset:12960
	ds_store_b64 v8, v[9:10] offset:19440
	ds_load_b64 v[4:5], v64 offset:14040
	ds_load_b64 v[6:7], v8 offset:18360
	v_mul_lo_u16 v14, 0xcd, v83
	s_delay_alu instid0(VALU_DEP_1)
	v_lshrrev_b16 v48, 11, v14
	s_waitcnt lgkmcnt(0)
	v_add_f32_e32 v11, v4, v6
	v_dual_add_f32 v9, v7, v5 :: v_dual_sub_f32 v10, v4, v6
	v_sub_f32_e32 v5, v5, v7
	s_waitcnt vmcnt(1)
	s_delay_alu instid0(VALU_DEP_2) | instskip(NEXT) | instid1(VALU_DEP_2)
	v_fma_f32 v6, v10, v3, v11
	v_fma_f32 v7, v9, v3, v5
	v_fma_f32 v4, -v10, v3, v11
	v_fma_f32 v5, v9, v3, -v5
	s_delay_alu instid0(VALU_DEP_4) | instskip(NEXT) | instid1(VALU_DEP_4)
	v_fma_f32 v6, -v2, v9, v6
	v_fmac_f32_e32 v7, v10, v2
	s_delay_alu instid0(VALU_DEP_4) | instskip(NEXT) | instid1(VALU_DEP_4)
	v_fmac_f32_e32 v4, v2, v9
	v_fmac_f32_e32 v5, v10, v2
	ds_store_b64 v64, v[6:7] offset:14040
	ds_store_b64 v8, v[4:5] offset:18360
	ds_load_b64 v[2:3], v64 offset:15120
	ds_load_b64 v[4:5], v8 offset:17280
	v_add_nc_u32_e32 v61, 0x1800, v64
	v_mul_u32_u24_e32 v6, 10, v60
	s_delay_alu instid0(VALU_DEP_1) | instskip(NEXT) | instid1(VALU_DEP_1)
	v_lshl_add_u32 v6, v6, 3, 0
	v_add_nc_u32_e32 v10, 0x2a50, v6
	v_add_nc_u32_e32 v12, 0x2a70, v6
	;; [unrolled: 1-line block ×3, first 2 shown]
	s_waitcnt lgkmcnt(0)
	v_dual_add_f32 v18, v2, v4 :: v_dual_add_f32 v19, v5, v3
	v_sub_f32_e32 v20, v2, v4
	v_sub_f32_e32 v4, v3, v5
	v_and_b32_e32 v16, 0xffff, v82
	v_mul_u32_u24_e32 v5, 0xcccd, v15
	s_delay_alu instid0(VALU_DEP_2)
	v_mul_u32_u24_e32 v30, 0xcccd, v16
	s_waitcnt vmcnt(0)
	v_fma_f32 v14, v20, v1, v18
	v_fma_f32 v2, v19, v1, v4
	v_fma_f32 v3, -v20, v1, v18
	v_fma_f32 v4, v19, v1, -v4
	v_lshrrev_b32_e32 v85, 19, v30
	v_fma_f32 v1, -v0, v19, v14
	v_fmac_f32_e32 v2, v20, v0
	v_fmac_f32_e32 v3, v0, v19
	;; [unrolled: 1-line block ×3, first 2 shown]
	ds_store_b64 v64, v[1:2] offset:15120
	ds_store_b64 v8, v[3:4] offset:17280
	v_add_nc_u32_e32 v8, 0x54a0, v6
	s_waitcnt lgkmcnt(0)
	s_barrier
	buffer_gl0_inv
	s_barrier
	buffer_gl0_inv
	ds_load_2addr_b64 v[0:3], v64 offset1:135
	ds_load_2addr_b64 v[14:17], v61 offset0:42 offset1:177
	ds_load_2addr_b64 v[18:21], v68 offset0:84 offset1:219
	;; [unrolled: 1-line block ×4, first 2 shown]
	v_add_nc_u32_e32 v71, 0x800, v64
	v_add_nc_u32_e32 v69, 0x6c00, v64
	;; [unrolled: 1-line block ×4, first 2 shown]
	v_lshrrev_b32_e32 v86, 19, v5
	v_add_nc_u32_e32 v79, 0x2a3, v60
	v_add_nc_u32_e32 v9, 0x2a40, v6
	;; [unrolled: 1-line block ×5, first 2 shown]
	v_mul_lo_u16 v4, v48, 10
	v_mul_lo_u16 v5, v86, 10
	v_add_nc_u32_e32 v105, 0x5490, v6
	v_and_b32_e32 v48, 0xffff, v48
	s_delay_alu instid0(VALU_DEP_4)
	v_sub_nc_u16 v4, v60, v4
	s_waitcnt lgkmcnt(3)
	v_add_f32_e32 v46, v0, v14
	s_waitcnt lgkmcnt(2)
	v_sub_f32_e32 v49, v14, v18
	v_sub_f32_e32 v108, v18, v14
	s_waitcnt lgkmcnt(0)
	v_sub_f32_e32 v106, v26, v22
	v_add_f32_e32 v107, v14, v26
	v_sub_f32_e32 v14, v14, v26
	v_sub_f32_e32 v112, v15, v19
	ds_load_2addr_b64 v[30:33], v71 offset0:14 offset1:149
	ds_load_2addr_b64 v[34:37], v66 offset0:56 offset1:191
	;; [unrolled: 1-line block ×10, first 2 shown]
	v_add_f32_e32 v125, v2, v16
	v_add_f32_e32 v131, v3, v17
	v_add_nc_u32_e32 v7, 0x2a30, v6
	v_add_f32_e32 v47, v18, v22
	v_sub_f32_e32 v59, v19, v23
	v_add_f32_e32 v109, v1, v15
	v_dual_sub_f32 v111, v18, v22 :: v_dual_add_f32 v126, v20, v24
	v_sub_f32_e32 v127, v17, v29
	v_dual_sub_f32 v128, v21, v25 :: v_dual_sub_f32 v129, v16, v20
	s_waitcnt lgkmcnt(8)
	v_add_f32_e32 v114, v32, v36
	s_waitcnt lgkmcnt(6)
	v_dual_add_f32 v142, v31, v35 :: v_dual_sub_f32 v117, v41, v45
	s_waitcnt lgkmcnt(5)
	v_dual_add_f32 v115, v40, v44 :: v_dual_sub_f32 v116, v37, v53
	s_waitcnt lgkmcnt(3)
	v_add_f32_e32 v150, v54, v87
	v_dual_add_f32 v152, v56, v89 :: v_dual_add_f32 v137, v30, v34
	v_sub_f32_e32 v118, v36, v40
	s_waitcnt lgkmcnt(1)
	v_dual_sub_f32 v119, v40, v36 :: v_dual_add_f32 v154, v91, v95
	v_add_f32_e32 v120, v33, v37
	v_dual_add_f32 v121, v41, v45 :: v_dual_sub_f32 v156, v87, v91
	v_dual_sub_f32 v122, v40, v44 :: v_dual_sub_f32 v123, v37, v41
	v_add_f32_e32 v158, v92, v96
	v_sub_f32_e32 v124, v41, v37
	v_sub_f32_e32 v130, v20, v16
	v_dual_add_f32 v132, v21, v25 :: v_dual_sub_f32 v133, v20, v24
	v_sub_f32_e32 v164, v89, v93
	v_sub_f32_e32 v134, v17, v21
	v_dual_sub_f32 v135, v21, v17 :: v_dual_add_f32 v40, v114, v40
	v_dual_add_f32 v17, v17, v29 :: v_dual_sub_f32 v114, v94, v90
	v_dual_add_f32 v138, v38, v42 :: v_dual_sub_f32 v139, v39, v43
	v_sub_f32_e32 v140, v34, v38
	v_dual_sub_f32 v141, v38, v34 :: v_dual_sub_f32 v144, v35, v39
	v_add_f32_e32 v37, v37, v53
	v_sub_f32_e32 v147, v35, v51
	v_add_f32_e32 v151, v55, v88
	v_add_f32_e32 v153, v57, v90
	v_sub_f32_e32 v145, v39, v35
	v_add_f32_e32 v35, v35, v51
	v_sub_f32_e32 v157, v91, v87
	v_dual_sub_f32 v159, v91, v95 :: v_dual_sub_f32 v160, v88, v92
	v_add_f32_e32 v18, v46, v18
	v_dual_add_f32 v20, v125, v20 :: v_dual_add_f32 v143, v39, v43
	v_add_f32_e32 v21, v131, v21
	v_dual_sub_f32 v46, v93, v89 :: v_dual_sub_f32 v131, v90, v94
	v_add_f32_e32 v39, v142, v39
	s_waitcnt lgkmcnt(0)
	v_sub_f32_e32 v142, v87, v99
	v_add_f32_e32 v91, v150, v91
	v_sub_f32_e32 v150, v90, v102
	v_add_f32_e32 v90, v90, v102
	v_sub_f32_e32 v149, v38, v42
	v_dual_add_f32 v38, v137, v38 :: v_dual_add_f32 v137, v87, v99
	v_dual_sub_f32 v87, v22, v26 :: v_dual_sub_f32 v58, v15, v27
	v_add_f32_e32 v113, v15, v27
	v_dual_sub_f32 v15, v19, v15 :: v_dual_add_f32 v148, v34, v50
	v_dual_sub_f32 v155, v92, v96 :: v_dual_add_f32 v106, v49, v106
	v_sub_f32_e32 v49, v23, v27
	v_add_f32_e32 v108, v108, v87
	v_sub_f32_e32 v87, v52, v44
	v_sub_nc_u16 v5, v81, v5
	v_add_f32_e32 v110, v19, v23
	v_add_f32_e32 v146, v36, v52
	s_delay_alu instid0(VALU_DEP_4)
	v_dual_sub_f32 v161, v92, v88 :: v_dual_add_f32 v118, v118, v87
	v_add_f32_e32 v162, v93, v97
	v_sub_f32_e32 v125, v93, v97
	v_add_f32_e32 v93, v152, v93
	v_add_f32_e32 v165, v15, v49
	v_and_b32_e32 v49, 0xff, v4
	v_dual_sub_f32 v4, v98, v102 :: v_dual_and_b32 v87, 0xffff, v5
	v_add_f32_e32 v19, v109, v19
	v_add_f32_e32 v109, v94, v98
	v_fma_f32 v37, -0.5, v37, v33
	v_sub_f32_e32 v5, v25, v29
	v_fma_f32 v146, -0.5, v146, v32
	v_sub_f32_e32 v163, v94, v98
	v_fma_f32 v109, -0.5, v109, v57
	v_dual_fmac_f32 v57, -0.5, v90 :: v_dual_add_f32 v90, v114, v4
	v_fma_f32 v114, -0.5, v132, v3
	v_add_f32_e32 v132, v135, v5
	v_sub_f32_e32 v5, v97, v101
	v_add_f32_e32 v94, v153, v94
	v_sub_f32_e32 v4, v95, v99
	v_add_f32_e32 v136, v16, v28
	v_fma_f32 v107, -0.5, v107, v0
	v_add_f32_e32 v46, v46, v5
	v_sub_f32_e32 v5, v29, v25
	v_sub_f32_e32 v153, v27, v23
	;; [unrolled: 1-line block ×3, first 2 shown]
	v_fma_f32 v33, -0.5, v121, v33
	v_fma_f32 v121, -0.5, v154, v54
	v_add_f32_e32 v134, v134, v5
	v_dual_add_f32 v112, v112, v153 :: v_dual_add_f32 v157, v157, v4
	v_sub_f32_e32 v4, v43, v51
	v_sub_f32_e32 v34, v34, v50
	v_fma_f32 v143, -0.5, v143, v31
	v_fma_f32 v110, -0.5, v110, v1
	v_add_f32_e32 v123, v123, v15
	v_fma_f32 v32, -0.5, v115, v32
	v_fma_f32 v115, -0.5, v126, v2
	;; [unrolled: 1-line block ×3, first 2 shown]
	v_fmac_f32_e32 v3, -0.5, v17
	v_sub_f32_e32 v15, v96, v100
	v_fma_f32 v126, -0.5, v158, v55
	v_fmac_f32_e32 v31, -0.5, v35
	v_fma_f32 v136, -0.5, v138, v30
	v_add_f32_e32 v35, v145, v4
	v_sub_f32_e32 v4, v24, v28
	v_add_f32_e32 v41, v120, v41
	v_sub_f32_e32 v120, v88, v100
	;; [unrolled: 2-line block ×3, first 2 shown]
	v_dual_add_f32 v130, v130, v4 :: v_dual_add_f32 v161, v161, v15
	v_sub_f32_e32 v4, v100, v96
	s_delay_alu instid0(VALU_DEP_4)
	v_fma_f32 v55, -0.5, v88, v55
	v_sub_f32_e32 v15, v28, v24
	v_fma_f32 v30, -0.5, v148, v30
	v_add_f32_e32 v92, v151, v92
	v_fma_f32 v88, -0.5, v162, v56
	v_sub_f32_e32 v5, v50, v42
	v_add_f32_e32 v129, v129, v15
	v_sub_f32_e32 v15, v99, v95
	v_fma_f32 v47, -0.5, v47, v0
	v_add_f32_e32 v0, v18, v22
	v_sub_f32_e32 v36, v36, v52
	v_fma_f32 v113, -0.5, v113, v1
	v_add_f32_e32 v145, v156, v15
	v_add_f32_e32 v156, v160, v4
	v_dual_sub_f32 v4, v51, v43 :: v_dual_add_f32 v151, v89, v101
	v_sub_f32_e32 v153, v44, v52
	v_sub_f32_e32 v89, v89, v101
	v_add_f32_e32 v22, v93, v97
	s_delay_alu instid0(VALU_DEP_4)
	v_add_f32_e32 v144, v144, v4
	v_add_f32_e32 v4, v20, v24
	v_dual_add_f32 v20, v91, v95 :: v_dual_fmamk_f32 v95, v142, 0x3f737871, v126
	v_fmac_f32_e32 v126, 0xbf737871, v142
	v_dual_sub_f32 v15, v42, v50 :: v_dual_fmamk_f32 v138, v149, 0xbf737871, v31
	v_fma_f32 v56, -0.5, v151, v56
	v_add_f32_e32 v119, v119, v153
	v_add_f32_e32 v1, v19, v23
	s_delay_alu instid0(VALU_DEP_4) | instskip(SKIP_4) | instid1(VALU_DEP_4)
	v_add_f32_e32 v141, v141, v15
	v_sub_f32_e32 v15, v102, v98
	v_add_f32_e32 v18, v38, v42
	v_fmamk_f32 v24, v59, 0x3f737871, v107
	v_fmamk_f32 v38, v58, 0xbf737871, v47
	v_dual_fmamk_f32 v42, v122, 0xbf737871, v37 :: v_dual_add_f32 v131, v131, v15
	v_dual_fmamk_f32 v148, v89, 0x3f737871, v109 :: v_dual_add_f32 v15, v40, v44
	s_delay_alu instid0(VALU_DEP_2)
	v_dual_add_f32 v23, v94, v98 :: v_dual_fmac_f32 v42, 0x3f167918, v36
	v_add_f32_e32 v26, v0, v26
	v_add_f32_e32 v28, v4, v28
	v_fmamk_f32 v98, v139, 0x3f737871, v30
	v_fmac_f32_e32 v30, 0xbf737871, v139
	v_add_f32_e32 v140, v140, v5
	v_dual_sub_f32 v5, v101, v97 :: v_dual_add_f32 v4, v15, v52
	v_dual_fmamk_f32 v52, v150, 0xbf737871, v88 :: v_dual_fmac_f32 v107, 0xbf737871, v59
	s_delay_alu instid0(VALU_DEP_2)
	v_dual_add_f32 v160, v164, v5 :: v_dual_lshlrev_b32 v135, 5, v87
	v_dual_add_f32 v5, v21, v25 :: v_dual_fmac_f32 v24, 0xbf167918, v58
	v_dual_add_f32 v21, v92, v96 :: v_dual_fmac_f32 v38, 0xbf167918, v59
	v_fmamk_f32 v92, v128, 0x3f737871, v2
	v_fmac_f32_e32 v2, 0xbf737871, v128
	v_dual_add_f32 v50, v18, v50 :: v_dual_fmamk_f32 v25, v117, 0x3f737871, v146
	v_fmac_f32_e32 v146, 0xbf737871, v117
	v_dual_add_f32 v17, v41, v45 :: v_dual_add_f32 v0, v26, v4
	s_delay_alu instid0(VALU_DEP_4)
	v_dual_fmac_f32 v107, 0x3f167918, v58 :: v_dual_fmac_f32 v2, 0x3f167918, v127
	v_dual_sub_f32 v153, v45, v53 :: v_dual_fmamk_f32 v40, v14, 0x3f737871, v110
	v_add_f32_e32 v19, v39, v43
	v_dual_fmac_f32 v47, 0x3f737871, v58 :: v_dual_sub_f32 v4, v26, v4
	v_fmac_f32_e32 v110, 0xbf737871, v14
	v_fmamk_f32 v94, v133, 0xbf737871, v3
	v_dual_add_f32 v29, v5, v29 :: v_dual_fmac_f32 v40, 0x3f167918, v111
	v_fmamk_f32 v96, v159, 0xbf737871, v55
	v_dual_fmac_f32 v146, 0x3f167918, v116 :: v_dual_add_f32 v5, v17, v53
	v_fmac_f32_e32 v110, 0xbf167918, v111
	v_dual_add_f32 v17, v20, v99 :: v_dual_fmac_f32 v94, 0x3f167918, v16
	v_add_f32_e32 v20, v22, v101
	v_fmamk_f32 v22, v125, 0xbf737871, v57
	v_dual_fmac_f32 v107, 0x3e9e377a, v108 :: v_dual_fmac_f32 v38, 0x3e9e377a, v106
	v_fmac_f32_e32 v57, 0x3f737871, v125
	v_add_f32_e32 v124, v124, v153
	v_lshlrev_b32_e32 v153, 5, v49
	v_fmamk_f32 v41, v116, 0xbf737871, v32
	v_fmac_f32_e32 v32, 0x3f737871, v116
	v_dual_fmac_f32 v47, 0x3f167918, v59 :: v_dual_fmac_f32 v96, 0x3f167918, v142
	v_fmac_f32_e32 v57, 0xbf167918, v89
	v_fmac_f32_e32 v2, 0x3e9e377a, v130
	v_fmamk_f32 v53, v163, 0x3f737871, v56
	v_fmac_f32_e32 v56, 0xbf737871, v163
	v_fmamk_f32 v93, v16, 0x3f737871, v114
	v_fmac_f32_e32 v114, 0xbf737871, v16
	v_dual_fmac_f32 v31, 0x3f737871, v149 :: v_dual_add_f32 v18, v21, v100
	v_dual_add_f32 v27, v1, v27 :: v_dual_fmac_f32 v32, 0x3f167918, v117
	v_fmac_f32_e32 v56, 0x3f167918, v150
	v_dual_fmac_f32 v96, 0x3e9e377a, v161 :: v_dual_fmac_f32 v57, 0x3e9e377a, v90
	v_fma_f32 v54, -0.5, v137, v54
	v_fmamk_f32 v39, v111, 0xbf737871, v113
	v_fmac_f32_e32 v113, 0x3f737871, v111
	v_fmac_f32_e32 v31, 0xbf167918, v34
	v_dual_fmac_f32 v138, 0x3f167918, v34 :: v_dual_add_f32 v1, v27, v5
	v_sub_f32_e32 v5, v27, v5
	v_dual_add_f32 v15, v29, v18 :: v_dual_fmac_f32 v24, 0x3e9e377a, v108
	v_fmamk_f32 v137, v34, 0x3f737871, v143
	v_fmac_f32_e32 v143, 0xbf737871, v34
	v_fmac_f32_e32 v56, 0x3e9e377a, v46
	v_mul_f32_e32 v34, 0xbe9e377a, v57
	v_fmac_f32_e32 v3, 0x3f737871, v133
	v_dual_fmamk_f32 v44, v120, 0xbf737871, v121 :: v_dual_add_f32 v21, v23, v102
	v_fmac_f32_e32 v92, 0xbf167918, v127
	v_fmac_f32_e32 v39, 0x3f167918, v14
	;; [unrolled: 1-line block ×4, first 2 shown]
	v_dual_fmac_f32 v3, 0xbf167918, v16 :: v_dual_sub_f32 v16, v28, v17
	v_dual_fmac_f32 v113, 0xbf167918, v14 :: v_dual_fmac_f32 v44, 0xbf167918, v155
	v_dual_add_f32 v14, v28, v17 :: v_dual_sub_f32 v17, v29, v18
	v_fmac_f32_e32 v146, 0x3e9e377a, v119
	v_add_f32_e32 v18, v50, v20
	v_dual_fmac_f32 v25, 0xbf167918, v116 :: v_dual_fmac_f32 v126, 0xbf167918, v159
	v_dual_fmac_f32 v92, 0x3e9e377a, v130 :: v_dual_add_f32 v51, v19, v51
	v_fmac_f32_e32 v114, 0xbf167918, v133
	s_delay_alu instid0(VALU_DEP_3) | instskip(SKIP_1) | instid1(VALU_DEP_4)
	v_fmac_f32_e32 v25, 0x3e9e377a, v119
	v_fmac_f32_e32 v37, 0x3f737871, v122
	v_dual_fmac_f32 v98, 0xbf167918, v147 :: v_dual_add_f32 v19, v51, v21
	v_fmac_f32_e32 v42, 0x3e9e377a, v124
	v_sub_f32_e32 v20, v50, v20
	s_delay_alu instid0(VALU_DEP_4) | instskip(SKIP_3) | instid1(VALU_DEP_4)
	v_fmac_f32_e32 v37, 0xbf167918, v36
	v_dual_sub_f32 v21, v51, v21 :: v_dual_fmac_f32 v40, 0x3e9e377a, v112
	v_fmac_f32_e32 v114, 0x3e9e377a, v134
	v_mul_f32_e32 v58, 0xbf737871, v57
	v_fmac_f32_e32 v37, 0x3e9e377a, v124
	v_fmamk_f32 v97, v147, 0xbf737871, v136
	v_fmac_f32_e32 v136, 0x3f737871, v147
	v_fmamk_f32 v91, v127, 0xbf737871, v115
	v_fmac_f32_e32 v52, 0xbf167918, v163
	v_mul_f32_e32 v50, 0xbe9e377a, v37
	v_fmamk_f32 v43, v36, 0x3f737871, v33
	v_fmac_f32_e32 v33, 0xbf737871, v36
	v_fmac_f32_e32 v136, 0x3f167918, v139
	;; [unrolled: 1-line block ×7, first 2 shown]
	v_mul_f32_e32 v36, 0xbf737871, v42
	v_dual_fmac_f32 v113, 0x3e9e377a, v165 :: v_dual_fmac_f32 v32, 0x3e9e377a, v118
	v_fmac_f32_e32 v43, 0x3e9e377a, v123
	v_fmac_f32_e32 v41, 0xbf167918, v117
	v_dual_fmac_f32 v33, 0x3e9e377a, v123 :: v_dual_fmac_f32 v44, 0x3e9e377a, v145
	v_fmac_f32_e32 v126, 0x3e9e377a, v156
	v_dual_fmac_f32 v138, 0x3e9e377a, v35 :: v_dual_fmac_f32 v53, 0x3e9e377a, v46
	v_mul_f32_e32 v28, 0xbf167918, v43
	v_fmac_f32_e32 v41, 0x3e9e377a, v118
	v_mul_f32_e32 v46, 0xbf737871, v37
	v_dual_mul_f32 v57, 0xbf4f1bbd, v33 :: v_dual_mul_f32 v100, 0xbf4f1bbd, v126
	v_fmac_f32_e32 v36, 0x3e9e377a, v25
	v_fmamk_f32 v45, v155, 0x3f737871, v54
	v_fmac_f32_e32 v54, 0xbf737871, v155
	v_fmac_f32_e32 v110, 0x3e9e377a, v112
	v_mul_f32_e32 v51, 0xbf167918, v33
	v_fmac_f32_e32 v57, 0x3f167918, v32
	v_fmac_f32_e32 v46, 0xbe9e377a, v146
	v_fmac_f32_e32 v54, 0x3f167918, v120
	v_fmac_f32_e32 v39, 0x3e9e377a, v165
	v_fmac_f32_e32 v22, 0x3f167918, v89
	v_fmac_f32_e32 v31, 0x3e9e377a, v35
	v_mul_f32_e32 v35, 0x3f167918, v41
	v_dual_fmac_f32 v51, 0xbf4f1bbd, v32 :: v_dual_add_f32 v32, v107, v46
	v_fmac_f32_e32 v95, 0x3f167918, v159
	v_fmac_f32_e32 v88, 0x3f737871, v150
	;; [unrolled: 1-line block ×3, first 2 shown]
	v_dual_fmac_f32 v28, 0x3f4f1bbd, v41 :: v_dual_fmac_f32 v35, 0x3f4f1bbd, v43
	s_delay_alu instid0(VALU_DEP_4) | instskip(SKIP_1) | instid1(VALU_DEP_3)
	v_dual_fmac_f32 v95, 0x3e9e377a, v156 :: v_dual_fmac_f32 v54, 0x3e9e377a, v157
	v_fmac_f32_e32 v91, 0xbf167918, v128
	v_dual_mul_f32 v108, 0x3e9e377a, v22 :: v_dual_add_f32 v23, v40, v35
	v_sub_f32_e32 v35, v40, v35
	v_fmac_f32_e32 v55, 0x3f737871, v159
	v_mul_f32_e32 v59, 0xbf167918, v95
	v_fmac_f32_e32 v136, 0x3e9e377a, v140
	v_fmac_f32_e32 v108, 0x3f737871, v53
	v_dual_add_f32 v40, v47, v51 :: v_dual_fmac_f32 v91, 0x3e9e377a, v129
	s_delay_alu instid0(VALU_DEP_4) | instskip(SKIP_3) | instid1(VALU_DEP_4)
	v_fmac_f32_e32 v59, 0x3f4f1bbd, v44
	v_fmac_f32_e32 v55, 0xbf167918, v142
	v_dual_fmac_f32 v109, 0xbf737871, v89 :: v_dual_mul_f32 v106, 0xbf737871, v22
	v_mul_f32_e32 v42, 0x3e9e377a, v42
	v_dual_mul_f32 v89, 0x3f167918, v44 :: v_dual_add_f32 v44, v91, v59
	s_delay_alu instid0(VALU_DEP_4) | instskip(SKIP_1) | instid1(VALU_DEP_4)
	v_fmac_f32_e32 v55, 0x3e9e377a, v161
	v_mul_f32_e32 v90, 0xbf737871, v96
	v_fmac_f32_e32 v42, 0x3f737871, v25
	v_mul_f32_e32 v96, 0x3e9e377a, v96
	;; [unrolled: 2-line block ×3, first 2 shown]
	v_mul_f32_e32 v55, 0xbf737871, v55
	v_add_f32_e32 v27, v39, v42
	v_fmac_f32_e32 v115, 0x3f737871, v127
	v_sub_f32_e32 v37, v39, v42
	v_fmac_f32_e32 v26, 0x3f737871, v54
	v_dual_sub_f32 v42, v47, v51 :: v_dual_fmac_f32 v3, 0x3e9e377a, v132
	v_fmac_f32_e32 v55, 0xbe9e377a, v54
	v_dual_fmac_f32 v115, 0x3f167918, v128 :: v_dual_fmac_f32 v30, 0x3f167918, v147
	v_fmac_f32_e32 v143, 0xbf167918, v149
	s_delay_alu instid0(VALU_DEP_4)
	v_add_f32_e32 v25, v3, v26
	v_dual_sub_f32 v3, v3, v26 :: v_dual_add_f32 v26, v24, v36
	v_fmac_f32_e32 v45, 0xbf167918, v120
	v_sub_f32_e32 v36, v24, v36
	v_add_f32_e32 v24, v2, v55
	v_dual_sub_f32 v2, v2, v55 :: v_dual_fmac_f32 v115, 0x3e9e377a, v129
	s_delay_alu instid0(VALU_DEP_4) | instskip(SKIP_2) | instid1(VALU_DEP_3)
	v_dual_fmac_f32 v52, 0x3e9e377a, v160 :: v_dual_fmac_f32 v45, 0x3e9e377a, v157
	v_fmac_f32_e32 v148, 0x3e9e377a, v131
	v_fmac_f32_e32 v121, 0x3f737871, v120
	v_dual_fmac_f32 v137, 0x3f167918, v149 :: v_dual_mul_f32 v102, 0x3f167918, v52
	s_delay_alu instid0(VALU_DEP_4) | instskip(NEXT) | instid1(VALU_DEP_3)
	v_fmac_f32_e32 v96, 0x3f737871, v45
	v_dual_add_f32 v22, v38, v28 :: v_dual_fmac_f32 v121, 0x3f167918, v155
	v_dual_fmac_f32 v93, 0x3f167918, v133 :: v_dual_fmac_f32 v88, 0x3f167918, v163
	s_delay_alu instid0(VALU_DEP_4) | instskip(SKIP_2) | instid1(VALU_DEP_4)
	v_dual_fmac_f32 v98, 0x3e9e377a, v141 :: v_dual_fmac_f32 v137, 0x3e9e377a, v144
	v_fmac_f32_e32 v90, 0x3e9e377a, v45
	v_fmac_f32_e32 v109, 0xbf167918, v125
	v_dual_fmac_f32 v93, 0x3e9e377a, v134 :: v_dual_fmac_f32 v106, 0x3e9e377a, v53
	v_mul_f32_e32 v101, 0xbf167918, v148
	v_add_f32_e32 v29, v31, v34
	v_dual_sub_f32 v31, v31, v34 :: v_dual_sub_f32 v34, v38, v28
	v_dual_add_f32 v41, v110, v57 :: v_dual_sub_f32 v38, v107, v46
	v_dual_sub_f32 v46, v91, v59 :: v_dual_fmac_f32 v143, 0x3e9e377a, v144
	v_dual_fmac_f32 v101, 0x3f4f1bbd, v52 :: v_dual_sub_f32 v52, v92, v90
	v_fmac_f32_e32 v109, 0x3e9e377a, v131
	v_dual_fmac_f32 v121, 0x3e9e377a, v145 :: v_dual_fmac_f32 v88, 0x3e9e377a, v160
	v_fmac_f32_e32 v97, 0xbf167918, v139
	v_mul_lo_u16 v152, v85, 10
	s_delay_alu instid0(VALU_DEP_4) | instskip(SKIP_3) | instid1(VALU_DEP_4)
	v_mul_f32_e32 v111, 0xbf167918, v109
	v_fmac_f32_e32 v30, 0x3e9e377a, v141
	v_fmac_f32_e32 v100, 0x3f167918, v121
	v_dual_fmac_f32 v89, 0x3f4f1bbd, v95 :: v_dual_fmac_f32 v102, 0x3f4f1bbd, v148
	v_fmac_f32_e32 v111, 0xbf4f1bbd, v88
	v_mul_f32_e32 v99, 0xbf167918, v126
	v_mul_f32_e32 v109, 0xbf4f1bbd, v109
	v_dual_fmac_f32 v58, 0xbe9e377a, v56 :: v_dual_add_f32 v33, v113, v50
	v_sub_f32_e32 v39, v113, v50
	v_dual_add_f32 v50, v92, v90 :: v_dual_fmac_f32 v97, 0x3e9e377a, v140
	v_add_f32_e32 v51, v94, v96
	v_dual_sub_f32 v53, v94, v96 :: v_dual_add_f32 v94, v136, v111
	v_dual_fmac_f32 v99, 0xbf4f1bbd, v121 :: v_dual_sub_f32 v96, v136, v111
	v_fmac_f32_e32 v109, 0x3f167918, v88
	v_sub_f32_e32 v43, v110, v57
	s_barrier
	buffer_gl0_inv
	v_add_f32_e32 v45, v93, v89
	v_dual_sub_f32 v47, v93, v89 :: v_dual_add_f32 v54, v115, v99
	v_dual_add_f32 v55, v114, v100 :: v_dual_sub_f32 v56, v115, v99
	v_sub_f32_e32 v57, v114, v100
	v_add_f32_e32 v28, v30, v58
	v_sub_f32_e32 v30, v30, v58
	v_add_f32_e32 v58, v97, v101
	v_add_f32_e32 v59, v137, v102
	v_sub_f32_e32 v88, v97, v101
	v_sub_f32_e32 v89, v137, v102
	v_add_f32_e32 v90, v98, v106
	v_add_f32_e32 v91, v138, v108
	v_sub_f32_e32 v92, v98, v106
	v_sub_f32_e32 v93, v138, v108
	v_add_f32_e32 v95, v143, v109
	v_sub_f32_e32 v97, v143, v109
	ds_store_2addr_b64 v6, v[0:1], v[22:23] offset1:1
	ds_store_2addr_b64 v6, v[26:27], v[32:33] offset0:2 offset1:3
	ds_store_2addr_b64 v6, v[40:41], v[4:5] offset0:4 offset1:5
	;; [unrolled: 1-line block ×4, first 2 shown]
	ds_store_2addr_b64 v7, v[14:15], v[44:45] offset1:1
	ds_store_2addr_b64 v9, v[50:51], v[24:25] offset1:1
	;; [unrolled: 1-line block ×10, first 2 shown]
	v_sub_nc_u16 v4, v82, v152
	v_and_b32_e32 v5, 0xffff, v80
	v_and_b32_e32 v6, 0xffff, v79
	v_sub_nc_u16 v7, v78, v166
	s_waitcnt lgkmcnt(0)
	v_and_b32_e32 v93, 0xffff, v4
	v_mul_u32_u24_e32 v4, 0xcccd, v5
	v_mul_u32_u24_e32 v5, 0xcccd, v6
	s_barrier
	buffer_gl0_inv
	s_clause 0x1
	global_load_b128 v[0:3], v153, s[4:5]
	global_load_b128 v[36:39], v153, s[4:5] offset:16
	v_lshrrev_b32_e32 v89, 19, v4
	v_lshrrev_b32_e32 v88, 19, v5
	v_and_b32_e32 v92, 0xffff, v7
	v_lshlrev_b32_e32 v6, 5, v93
	s_clause 0x1
	global_load_b128 v[40:43], v135, s[4:5]
	global_load_b128 v[20:23], v135, s[4:5] offset:16
	v_mul_lo_u16 v5, v89, 10
	v_mul_lo_u16 v7, v88, 10
	v_lshlrev_b32_e32 v4, 5, v92
	s_clause 0x1
	global_load_b128 v[8:11], v6, s[4:5]
	global_load_b128 v[24:27], v6, s[4:5] offset:16
	v_sub_nc_u16 v5, v80, v5
	v_sub_nc_u16 v7, v79, v7
	s_clause 0x1
	global_load_b128 v[12:15], v4, s[4:5]
	global_load_b128 v[28:31], v4, s[4:5] offset:16
	v_mul_u32_u24_e32 v48, 0x190, v48
	v_and_b32_e32 v91, 0xffff, v5
	v_and_b32_e32 v90, 0xffff, v7
	s_delay_alu instid0(VALU_DEP_2) | instskip(NEXT) | instid1(VALU_DEP_2)
	v_lshlrev_b32_e32 v4, 5, v91
	v_lshlrev_b32_e32 v44, 5, v90
	s_clause 0x3
	global_load_b128 v[32:35], v4, s[4:5]
	global_load_b128 v[16:19], v44, s[4:5]
	global_load_b128 v[4:7], v4, s[4:5] offset:16
	global_load_b128 v[44:47], v44, s[4:5] offset:16
	ds_load_2addr_b64 v[95:98], v61 offset0:42 offset1:177
	ds_load_2addr_b64 v[99:102], v68 offset0:84 offset1:219
	v_lshlrev_b32_e32 v49, 3, v49
	s_delay_alu instid0(VALU_DEP_1)
	v_add3_u32 v94, 0, v48, v49
	ds_load_2addr_b64 v[103:106], v65 offset0:62 offset1:197
	ds_load_2addr_b64 v[107:110], v67 offset0:40 offset1:175
	;; [unrolled: 1-line block ×10, first 2 shown]
	ds_load_2addr_b64 v[56:59], v64 offset1:135
	ds_load_2addr_b64 v[52:55], v71 offset0:14 offset1:149
	ds_load_2addr_b64 v[48:51], v74 offset0:28 offset1:163
	s_waitcnt vmcnt(0) lgkmcnt(0)
	s_barrier
	buffer_gl0_inv
	v_dual_mul_f32 v143, v1, v96 :: v_dual_mul_f32 v144, v100, v3
	v_mul_f32_e32 v148, v108, v39
	v_mul_f32_e32 v39, v107, v39
	s_delay_alu instid0(VALU_DEP_3) | instskip(NEXT) | instid1(VALU_DEP_3)
	v_dual_fmac_f32 v143, v0, v95 :: v_dual_fmac_f32 v144, v99, v2
	v_dual_mul_f32 v1, v1, v95 :: v_dual_fmac_f32 v148, v107, v38
	v_mul_f32_e32 v149, v106, v21
	v_mul_f32_e32 v150, v110, v23
	;; [unrolled: 1-line block ×3, first 2 shown]
	s_delay_alu instid0(VALU_DEP_4) | instskip(SKIP_2) | instid1(VALU_DEP_4)
	v_fma_f32 v0, v0, v96, -v1
	v_mul_f32_e32 v147, v104, v37
	v_dual_mul_f32 v95, v120, v25 :: v_dual_mul_f32 v146, v102, v43
	v_fmac_f32_e32 v152, v115, v10
	s_delay_alu instid0(VALU_DEP_3) | instskip(SKIP_4) | instid1(VALU_DEP_4)
	v_dual_fmac_f32 v150, v109, v22 :: v_dual_fmac_f32 v147, v103, v36
	v_mul_f32_e32 v37, v103, v37
	v_mul_f32_e32 v145, v98, v41
	;; [unrolled: 1-line block ×3, first 2 shown]
	v_fmac_f32_e32 v146, v101, v42
	v_fma_f32 v36, v104, v36, -v37
	v_mul_f32_e32 v96, v128, v33
	v_fma_f32 v37, v108, v38, -v39
	v_sub_f32_e32 v108, v143, v148
	v_mul_f32_e32 v3, v99, v3
	s_delay_alu instid0(VALU_DEP_4) | instskip(SKIP_2) | instid1(VALU_DEP_4)
	v_dual_mul_f32 v43, v101, v43 :: v_dual_fmac_f32 v96, v127, v32
	v_mul_f32_e32 v99, v134, v19
	v_mul_f32_e32 v19, v133, v19
	v_fma_f32 v1, v100, v2, -v3
	v_mul_f32_e32 v2, v118, v15
	v_mul_f32_e32 v3, v117, v15
	;; [unrolled: 1-line block ×3, first 2 shown]
	v_fma_f32 v25, v98, v40, -v41
	v_mul_f32_e32 v23, v109, v23
	v_mul_f32_e32 v100, v140, v7
	v_dual_mul_f32 v7, v139, v7 :: v_dual_mul_f32 v38, v136, v5
	v_fmac_f32_e32 v99, v133, v18
	s_delay_alu instid0(VALU_DEP_4)
	v_fma_f32 v39, v110, v22, -v23
	v_mul_f32_e32 v21, v105, v21
	v_fma_f32 v23, v120, v24, -v15
	v_fma_f32 v104, v134, v18, -v19
	v_fmac_f32_e32 v100, v139, v6
	v_dual_sub_f32 v18, v144, v143 :: v_dual_fmac_f32 v149, v105, v20
	v_fma_f32 v105, v140, v6, -v7
	v_dual_add_f32 v6, v144, v147 :: v_dual_fmac_f32 v145, v97, v40
	v_mul_f32_e32 v40, v124, v27
	v_mul_f32_e32 v27, v123, v27
	;; [unrolled: 1-line block ×3, first 2 shown]
	v_fma_f32 v20, v106, v20, -v21
	v_mul_f32_e32 v101, v138, v45
	v_mul_f32_e32 v21, v137, v45
	;; [unrolled: 1-line block ×3, first 2 shown]
	v_fmac_f32_e32 v2, v117, v14
	v_fmac_f32_e32 v40, v123, v26
	v_dual_fmac_f32 v38, v135, v4 :: v_dual_mul_f32 v45, v142, v47
	v_fma_f32 v47, v124, v26, -v27
	v_add_f32_e32 v26, v0, v37
	v_fma_f32 v42, v102, v42, -v43
	v_mul_f32_e32 v43, v126, v31
	v_mul_f32_e32 v31, v125, v31
	v_sub_f32_e32 v134, v23, v47
	v_dual_mul_f32 v11, v115, v11 :: v_dual_mul_f32 v98, v130, v17
	s_delay_alu instid0(VALU_DEP_4) | instskip(NEXT) | instid1(VALU_DEP_4)
	v_dual_fmac_f32 v43, v125, v30 :: v_dual_add_f32 v166, v96, v100
	v_fma_f32 v102, v126, v30, -v31
	v_dual_sub_f32 v30, v145, v146 :: v_dual_fmac_f32 v151, v111, v8
	v_mul_f32_e32 v17, v129, v17
	v_fma_f32 v3, v118, v14, -v3
	v_fmac_f32_e32 v98, v129, v16
	v_fma_f32 v106, v142, v46, -v22
	v_add_f32_e32 v126, v151, v40
	v_fmac_f32_e32 v95, v119, v24
	v_mul_f32_e32 v41, v122, v29
	v_dual_mul_f32 v29, v121, v29 :: v_dual_add_f32 v118, v52, v151
	v_fma_f32 v103, v130, v16, -v17
	s_delay_alu instid0(VALU_DEP_4) | instskip(SKIP_1) | instid1(VALU_DEP_4)
	v_sub_f32_e32 v124, v40, v95
	v_sub_f32_e32 v22, v1, v0
	v_fma_f32 v24, v122, v28, -v29
	v_dual_sub_f32 v122, v152, v151 :: v_dual_mul_f32 v9, v111, v9
	v_mul_f32_e32 v153, v114, v13
	v_mul_f32_e32 v13, v113, v13
	v_sub_f32_e32 v14, v37, v36
	v_sub_f32_e32 v158, v102, v24
	v_fma_f32 v8, v112, v8, -v9
	v_fma_f32 v9, v116, v10, -v11
	;; [unrolled: 1-line block ×3, first 2 shown]
	v_mul_f32_e32 v5, v135, v5
	v_dual_mul_f32 v33, v127, v33 :: v_dual_sub_f32 v112, v145, v150
	v_sub_f32_e32 v114, v42, v25
	s_delay_alu instid0(VALU_DEP_4) | instskip(NEXT) | instid1(VALU_DEP_4)
	v_sub_f32_e32 v154, v10, v3
	v_fma_f32 v16, v136, v4, -v5
	v_dual_add_f32 v136, v55, v10 :: v_dual_fmac_f32 v41, v121, v28
	v_dual_add_f32 v28, v59, v25 :: v_dual_fmac_f32 v153, v113, v12
	v_fma_f32 v11, v128, v32, -v33
	v_sub_f32_e32 v156, v10, v102
	s_delay_alu instid0(VALU_DEP_4) | instskip(NEXT) | instid1(VALU_DEP_4)
	v_add_f32_e32 v136, v136, v3
	v_add_f32_e32 v28, v28, v42
	v_mul_f32_e32 v97, v132, v35
	v_mul_f32_e32 v35, v131, v35
	v_sub_f32_e32 v142, v41, v43
	v_add_f32_e32 v160, v49, v11
	v_dual_fmac_f32 v101, v137, v44 :: v_dual_add_f32 v170, v11, v105
	s_delay_alu instid0(VALU_DEP_4)
	v_fma_f32 v12, v132, v34, -v35
	v_fmac_f32_e32 v45, v141, v46
	v_dual_add_f32 v35, v42, v20 :: v_dual_sub_f32 v46, v25, v42
	v_sub_f32_e32 v171, v105, v16
	v_sub_f32_e32 v113, v42, v20
	v_add_f32_e32 v42, v118, v152
	v_add_f32_e32 v118, v12, v16
	v_dual_add_f32 v15, v56, v143 :: v_dual_sub_f32 v176, v45, v101
	v_dual_sub_f32 v4, v143, v144 :: v_dual_sub_f32 v13, v0, v1
	v_dual_sub_f32 v174, v98, v99 :: v_dual_add_f32 v17, v57, v0
	v_sub_f32_e32 v110, v144, v147
	v_sub_f32_e32 v32, v150, v149
	;; [unrolled: 1-line block ×3, first 2 shown]
	v_add_f32_e32 v0, v58, v145
	v_sub_f32_e32 v116, v39, v20
	v_add_f32_e32 v144, v15, v144
	v_add_f32_e32 v178, v30, v32
	v_fma_f32 v44, v138, v44, -v21
	v_sub_f32_e32 v138, v153, v2
	v_dual_fmac_f32 v97, v131, v34 :: v_dual_sub_f32 v168, v12, v11
	v_dual_add_f32 v120, v152, v95 :: v_dual_add_f32 v7, v1, v36
	v_sub_f32_e32 v172, v16, v105
	v_dual_sub_f32 v27, v36, v37 :: v_dual_add_f32 v116, v46, v116
	v_dual_add_f32 v29, v146, v149 :: v_dual_add_f32 v160, v160, v12
	v_sub_f32_e32 v115, v25, v39
	v_dual_add_f32 v119, v53, v8 :: v_dual_add_f32 v42, v42, v95
	v_sub_f32_e32 v128, v9, v23
	v_dual_sub_f32 v130, v8, v9 :: v_dual_sub_f32 v131, v9, v8
	v_dual_sub_f32 v31, v146, v145 :: v_dual_sub_f32 v132, v8, v47
	v_add_f32_e32 v133, v8, v47
	v_dual_sub_f32 v8, v47, v23 :: v_dual_sub_f32 v139, v2, v153
	v_sub_f32_e32 v111, v146, v149
	v_sub_f32_e32 v162, v96, v97
	v_add_f32_e32 v146, v0, v146
	v_fma_f32 v0, -0.5, v6, v56
	v_fma_f32 v6, -0.5, v120, v52
	v_dual_add_f32 v135, v54, v153 :: v_dual_add_f32 v46, v144, v147
	v_sub_f32_e32 v15, v100, v38
	v_add_f32_e32 v21, v143, v148
	v_dual_sub_f32 v33, v149, v150 :: v_dual_add_f32 v120, v130, v8
	v_add_f32_e32 v137, v2, v41
	v_dual_sub_f32 v140, v2, v41 :: v_dual_add_f32 v135, v135, v2
	v_fma_f32 v8, -0.5, v126, v52
	v_add_f32_e32 v126, v162, v15
	v_fma_f32 v2, -0.5, v21, v56
	v_sub_f32_e32 v117, v20, v39
	v_sub_f32_e32 v109, v1, v36
	v_sub_f32_e32 v19, v147, v148
	v_add_f32_e32 v129, v9, v23
	s_delay_alu instid0(VALU_DEP_4)
	v_dual_sub_f32 v167, v12, v16 :: v_dual_add_f32 v114, v114, v117
	v_sub_f32_e32 v121, v151, v152
	v_add_f32_e32 v52, v131, v134
	v_add_f32_e32 v134, v160, v16
	v_fmamk_f32 v16, v109, 0x3f737871, v2
	v_dual_fmac_f32 v2, 0xbf737871, v109 :: v_dual_sub_f32 v5, v148, v147
	v_dual_add_f32 v34, v145, v150 :: v_dual_sub_f32 v123, v152, v95
	v_sub_f32_e32 v125, v95, v40
	v_sub_f32_e32 v155, v3, v10
	v_dual_add_f32 v157, v10, v102 :: v_dual_add_f32 v10, v48, v96
	v_dual_add_f32 v117, v121, v124 :: v_dual_add_f32 v124, v154, v158
	v_dual_add_f32 v177, v18, v19 :: v_dual_fmamk_f32 v18, v107, 0xbf737871, v0
	v_dual_fmac_f32 v0, 0x3f737871, v107 :: v_dual_add_f32 v175, v13, v14
	v_fma_f32 v14, -0.5, v166, v48
	v_dual_fmac_f32 v16, 0xbf167918, v107 :: v_dual_sub_f32 v163, v97, v96
	v_dual_sub_f32 v96, v96, v100 :: v_dual_add_f32 v161, v97, v38
	v_sub_f32_e32 v152, v11, v12
	v_dual_sub_f32 v169, v11, v105 :: v_dual_fmac_f32 v2, 0x3f167918, v107
	v_add_f32_e32 v173, v4, v5
	v_fma_f32 v4, -0.5, v29, v58
	v_fma_f32 v58, -0.5, v34, v58
	v_fmamk_f32 v34, v167, 0x3f737871, v14
	v_fma_f32 v12, -0.5, v161, v48
	v_sub_f32_e32 v159, v24, v102
	v_add_f32_e32 v48, v168, v172
	v_sub_f32_e32 v127, v151, v40
	s_delay_alu instid0(VALU_DEP_4)
	v_dual_sub_f32 v151, v3, v24 :: v_dual_fmamk_f32 v32, v169, 0xbf737871, v12
	v_dual_fmac_f32 v12, 0x3f737871, v169 :: v_dual_add_f32 v131, v28, v20
	v_dual_fmamk_f32 v20, v115, 0xbf737871, v4 :: v_dual_add_f32 v25, v25, v39
	v_add_f32_e32 v130, v146, v149
	v_add_f32_e32 v56, v99, v101
	;; [unrolled: 1-line block ×3, first 2 shown]
	v_fma_f32 v1, -0.5, v7, v57
	v_fma_f32 v13, -0.5, v118, v49
	v_fmac_f32_e32 v18, 0xbf167918, v109
	v_add_f32_e32 v118, v152, v171
	v_add_f32_e32 v143, v153, v43
	v_sub_f32_e32 v145, v153, v43
	v_dual_add_f32 v153, v3, v24 :: v_dual_sub_f32 v164, v97, v38
	v_dual_add_f32 v119, v119, v9 :: v_dual_add_f32 v40, v42, v40
	v_fma_f32 v3, -0.5, v26, v57
	v_fmac_f32_e32 v4, 0x3f737871, v115
	v_dual_add_f32 v57, v22, v27 :: v_dual_fmamk_f32 v22, v113, 0x3f737871, v58
	v_add_f32_e32 v97, v10, v97
	v_fmac_f32_e32 v20, 0xbf167918, v113
	v_fma_f32 v9, -0.5, v133, v53
	v_fmamk_f32 v19, v108, 0x3f737871, v1
	v_fmac_f32_e32 v58, 0xbf737871, v113
	v_dual_fmac_f32 v14, 0xbf737871, v167 :: v_dual_add_f32 v133, v136, v24
	v_fmamk_f32 v24, v132, 0xbf737871, v6
	v_fmac_f32_e32 v6, 0x3f737871, v132
	v_fma_f32 v10, -0.5, v137, v54
	s_delay_alu instid0(VALU_DEP_4)
	v_fmac_f32_e32 v14, 0x3f167918, v169
	v_fma_f32 v54, -0.5, v143, v54
	v_fma_f32 v15, -0.5, v170, v49
	v_dual_add_f32 v95, v119, v23 :: v_dual_fmac_f32 v34, 0xbf167918, v169
	v_dual_add_f32 v119, v135, v41 :: v_dual_fmac_f32 v20, 0x3e9e377a, v178
	v_dual_sub_f32 v165, v38, v100 :: v_dual_fmac_f32 v22, 0xbf167918, v115
	v_dual_add_f32 v97, v97, v38 :: v_dual_fmac_f32 v16, 0x3e9e377a, v177
	v_dual_add_f32 v38, v130, v150 :: v_dual_add_f32 v49, v17, v36
	v_fmac_f32_e32 v32, 0xbf167918, v167
	v_fmamk_f32 v17, v110, 0xbf737871, v3
	v_fmac_f32_e32 v3, 0x3f737871, v110
	v_fmamk_f32 v28, v156, 0xbf737871, v10
	v_fmamk_f32 v30, v151, 0x3f737871, v54
	v_fmac_f32_e32 v19, 0x3f167918, v110
	v_fmac_f32_e32 v17, 0x3f167918, v108
	;; [unrolled: 1-line block ×3, first 2 shown]
	v_sub_f32_e32 v141, v43, v41
	v_dual_add_f32 v179, v31, v33 :: v_dual_fmac_f32 v24, 0xbf167918, v128
	v_dual_fmamk_f32 v26, v128, 0x3f737871, v8 :: v_dual_add_f32 v121, v122, v125
	v_add_f32_e32 v122, v139, v142
	v_dual_fmac_f32 v10, 0x3f737871, v156 :: v_dual_add_f32 v125, v155, v159
	v_fmac_f32_e32 v30, 0xbf167918, v156
	v_add_f32_e32 v36, v46, v148
	v_fmac_f32_e32 v0, 0x3f167918, v109
	v_fmac_f32_e32 v4, 0x3f167918, v113
	v_dual_add_f32 v37, v49, v37 :: v_dual_fmac_f32 v58, 0x3f167918, v115
	v_dual_add_f32 v41, v95, v47 :: v_dual_fmac_f32 v18, 0x3e9e377a, v173
	v_fmac_f32_e32 v28, 0xbf167918, v151
	v_dual_fmac_f32 v19, 0x3e9e377a, v175 :: v_dual_fmac_f32 v24, 0x3e9e377a, v117
	v_fmac_f32_e32 v12, 0x3f167918, v167
	v_dual_add_f32 v39, v131, v39 :: v_dual_fmac_f32 v2, 0x3e9e377a, v177
	v_dual_fmac_f32 v17, 0x3e9e377a, v57 :: v_dual_fmac_f32 v58, 0x3e9e377a, v179
	v_dual_fmac_f32 v3, 0x3e9e377a, v57 :: v_dual_fmac_f32 v30, 0x3e9e377a, v122
	v_fmac_f32_e32 v4, 0x3e9e377a, v178
	ds_store_2addr_b64 v94, v[36:37], v[18:19] offset1:10
	ds_store_2addr_b64 v94, v[16:17], v[2:3] offset0:20 offset1:30
	v_add_f32_e32 v18, v174, v176
	v_add_f32_e32 v3, v98, v45
	v_fma_f32 v5, -0.5, v35, v59
	v_fma_f32 v2, -0.5, v56, v50
	v_add_f32_e32 v19, v50, v98
	v_sub_f32_e32 v16, v103, v106
	v_fma_f32 v50, -0.5, v3, v50
	v_sub_f32_e32 v3, v104, v44
	v_fmac_f32_e32 v1, 0xbf737871, v108
	v_fmamk_f32 v21, v112, 0x3f737871, v5
	v_dual_fmac_f32 v59, -0.5, v25 :: v_dual_fmac_f32 v6, 0x3f167918, v128
	s_delay_alu instid0(VALU_DEP_4)
	v_fmamk_f32 v36, v3, 0x3f737871, v50
	v_dual_fmac_f32 v50, 0xbf737871, v3 :: v_dual_fmac_f32 v5, 0xbf737871, v112
	v_fmac_f32_e32 v1, 0xbf167918, v110
	v_fmamk_f32 v17, v16, 0xbf737871, v2
	v_fmac_f32_e32 v2, 0x3f737871, v16
	v_fmac_f32_e32 v36, 0xbf167918, v16
	;; [unrolled: 1-line block ×3, first 2 shown]
	v_add_f32_e32 v16, v51, v103
	v_fma_f32 v7, -0.5, v129, v53
	v_fmamk_f32 v23, v111, 0xbf737871, v59
	v_fmamk_f32 v33, v96, 0x3f737871, v13
	v_fmac_f32_e32 v13, 0xbf737871, v96
	s_delay_alu instid0(VALU_DEP_4)
	v_dual_add_f32 v16, v16, v104 :: v_dual_fmamk_f32 v25, v127, 0x3f737871, v7
	v_sub_f32_e32 v37, v99, v98
	v_sub_f32_e32 v49, v101, v45
	v_fmac_f32_e32 v17, 0xbf167918, v3
	v_fmac_f32_e32 v2, 0x3f167918, v3
	v_dual_add_f32 v19, v19, v99 :: v_dual_add_f32 v16, v16, v44
	v_fmac_f32_e32 v59, 0x3f737871, v111
	v_fmamk_f32 v27, v123, 0xbf737871, v9
	v_fmac_f32_e32 v9, 0x3f737871, v123
	v_fmamk_f32 v35, v164, 0xbf737871, v15
	v_fmac_f32_e32 v15, 0x3f737871, v164
	v_fmac_f32_e32 v33, 0x3f167918, v164
	;; [unrolled: 1-line block ×3, first 2 shown]
	v_add_f32_e32 v3, v37, v49
	v_fmac_f32_e32 v17, 0x3e9e377a, v18
	v_fmac_f32_e32 v2, 0x3e9e377a, v18
	v_dual_add_f32 v18, v19, v101 :: v_dual_add_f32 v19, v104, v44
	v_add_f32_e32 v49, v16, v106
	v_add_f32_e32 v16, v103, v106
	v_fmac_f32_e32 v54, 0xbf737871, v151
	v_fma_f32 v11, -0.5, v153, v55
	v_fmac_f32_e32 v9, 0xbf167918, v127
	v_fmac_f32_e32 v35, 0x3f167918, v96
	;; [unrolled: 1-line block ×3, first 2 shown]
	v_dual_fmac_f32 v33, 0x3e9e377a, v118 :: v_dual_fmac_f32 v36, 0x3e9e377a, v3
	v_dual_fmac_f32 v13, 0x3e9e377a, v118 :: v_dual_fmac_f32 v50, 0x3e9e377a, v3
	v_fma_f32 v3, -0.5, v19, v51
	v_sub_f32_e32 v19, v98, v45
	v_dual_fmac_f32 v51, -0.5, v16 :: v_dual_sub_f32 v16, v104, v103
	v_fmac_f32_e32 v27, 0x3f167918, v127
	v_fmac_f32_e32 v7, 0xbf737871, v127
	v_fmamk_f32 v29, v145, 0x3f737871, v11
	v_dual_fmac_f32 v11, 0xbf737871, v145 :: v_dual_add_f32 v42, v119, v43
	v_dual_add_f32 v129, v163, v165 :: v_dual_fmac_f32 v54, 0x3f167918, v156
	v_dual_fmac_f32 v27, 0x3e9e377a, v52 :: v_dual_fmac_f32 v12, 0x3e9e377a, v126
	s_delay_alu instid0(VALU_DEP_2)
	v_dual_fmac_f32 v9, 0x3e9e377a, v52 :: v_dual_fmac_f32 v34, 0x3e9e377a, v129
	v_fmac_f32_e32 v35, 0x3e9e377a, v48
	v_dual_fmac_f32 v15, 0x3e9e377a, v48 :: v_dual_add_f32 v48, v18, v45
	v_sub_f32_e32 v37, v103, v104
	v_dual_sub_f32 v45, v106, v44 :: v_dual_sub_f32 v52, v99, v101
	v_fmamk_f32 v18, v19, 0x3f737871, v3
	v_fmac_f32_e32 v3, 0xbf737871, v19
	v_dual_fmac_f32 v55, -0.5, v157 :: v_dual_fmac_f32 v10, 0x3f167918, v151
	v_dual_fmac_f32 v8, 0xbf737871, v128 :: v_dual_add_f32 v53, v138, v141
	v_fmac_f32_e32 v23, 0x3f167918, v112
	v_fmac_f32_e32 v59, 0xbf167918, v112
	v_dual_fmac_f32 v21, 0x3f167918, v111 :: v_dual_fmac_f32 v18, 0x3f167918, v52
	v_dual_add_f32 v45, v37, v45 :: v_dual_sub_f32 v44, v44, v106
	v_fmac_f32_e32 v11, 0xbf167918, v140
	v_fmac_f32_e32 v3, 0xbf167918, v52
	;; [unrolled: 1-line block ×3, first 2 shown]
	v_dual_fmac_f32 v23, 0x3e9e377a, v114 :: v_dual_fmac_f32 v28, 0x3e9e377a, v53
	v_dual_fmac_f32 v59, 0x3e9e377a, v114 :: v_dual_fmac_f32 v10, 0x3e9e377a, v53
	v_fmamk_f32 v37, v52, 0xbf737871, v51
	v_fmac_f32_e32 v51, 0x3f737871, v52
	v_mul_u32_u24_e32 v52, 0x190, v86
	v_lshlrev_b32_e32 v53, 3, v87
	v_dual_add_f32 v43, v133, v102 :: v_dual_fmac_f32 v0, 0x3e9e377a, v173
	v_dual_fmac_f32 v5, 0xbf167918, v111 :: v_dual_add_f32 v16, v16, v44
	v_dual_fmac_f32 v26, 0xbf167918, v132 :: v_dual_fmac_f32 v7, 0xbf167918, v123
	v_dual_fmac_f32 v1, 0x3e9e377a, v175 :: v_dual_fmac_f32 v6, 0x3e9e377a, v117
	;; [unrolled: 1-line block ×3, first 2 shown]
	v_fmac_f32_e32 v3, 0x3e9e377a, v45
	v_mul_u32_u24_e32 v44, 0x190, v85
	v_lshlrev_b32_e32 v45, 3, v93
	v_fmac_f32_e32 v25, 0x3f167918, v123
	v_dual_fmac_f32 v21, 0x3e9e377a, v116 :: v_dual_fmac_f32 v26, 0x3e9e377a, v121
	v_fmac_f32_e32 v37, 0x3f167918, v19
	v_fmac_f32_e32 v51, 0xbf167918, v19
	v_add3_u32 v19, 0, v52, v53
	v_dual_add_f32 v47, v134, v105 :: v_dual_fmac_f32 v22, 0x3e9e377a, v179
	v_dual_fmac_f32 v5, 0x3e9e377a, v116 :: v_dual_fmac_f32 v8, 0x3e9e377a, v121
	v_dual_fmac_f32 v7, 0x3e9e377a, v120 :: v_dual_fmac_f32 v32, 0x3e9e377a, v126
	ds_store_b64 v94, v[0:1] offset:320
	ds_store_2addr_b64 v19, v[38:39], v[20:21] offset1:10
	v_add3_u32 v0, 0, v44, v45
	v_dual_fmac_f32 v25, 0x3e9e377a, v120 :: v_dual_fmac_f32 v54, 0x3e9e377a, v122
	v_fmamk_f32 v31, v140, 0xbf737871, v55
	v_fmac_f32_e32 v55, 0x3f737871, v140
	ds_store_2addr_b64 v19, v[22:23], v[58:59] offset0:20 offset1:30
	ds_store_b64 v19, v[4:5] offset:320
	ds_store_2addr_b64 v0, v[40:41], v[24:25] offset1:10
	ds_store_2addr_b64 v0, v[26:27], v[8:9] offset0:20 offset1:30
	v_lshrrev_b16 v4, 1, v81
	ds_store_b64 v0, v[6:7] offset:320
	v_mul_lo_u16 v6, v83, 41
	v_fmac_f32_e32 v29, 0x3f167918, v140
	v_fmac_f32_e32 v37, 0x3e9e377a, v16
	;; [unrolled: 1-line block ×3, first 2 shown]
	v_mul_u32_u24_e32 v1, 0x190, v84
	v_dual_fmac_f32 v31, 0x3f167918, v145 :: v_dual_lshlrev_b32 v16, 3, v92
	v_mul_u32_u24_e32 v0, 0x190, v89
	v_lshlrev_b32_e32 v5, 3, v91
	v_and_b32_e32 v4, 0xffff, v4
	v_lshrrev_b16 v45, 11, v6
	v_dual_fmac_f32 v55, 0xbf167918, v145 :: v_dual_lshlrev_b32 v6, 3, v90
	v_add_f32_e32 v46, v97, v100
	v_dual_fmac_f32 v29, 0x3e9e377a, v124 :: v_dual_fmac_f32 v14, 0x3e9e377a, v129
	v_fmac_f32_e32 v31, 0x3e9e377a, v125
	s_delay_alu instid0(VALU_DEP_4)
	v_fmac_f32_e32 v55, 0x3e9e377a, v125
	v_add3_u32 v1, 0, v1, v16
	v_add3_u32 v0, 0, v0, v5
	v_mul_u32_u24_e32 v4, 0x147b, v4
	v_mul_u32_u24_e32 v5, 0x190, v88
	ds_store_2addr_b64 v1, v[42:43], v[28:29] offset1:10
	ds_store_2addr_b64 v1, v[30:31], v[54:55] offset0:20 offset1:30
	ds_store_b64 v1, v[10:11] offset:320
	v_lshrrev_b32_e32 v16, 17, v4
	ds_store_2addr_b64 v0, v[46:47], v[32:33] offset1:10
	v_mul_lo_u16 v1, v45, 50
	v_add3_u32 v4, 0, v5, v6
	ds_store_2addr_b64 v0, v[34:35], v[14:15] offset0:20 offset1:30
	ds_store_b64 v0, v[12:13] offset:320
	v_lshrrev_b16 v0, 1, v82
	v_lshrrev_b16 v6, 1, v78
	v_sub_nc_u16 v1, v60, v1
	v_mul_lo_u16 v5, v16, 50
	v_add_nc_u32_e32 v30, 0x438, v60
	v_and_b32_e32 v23, 0xffff, v0
	v_and_b32_e32 v20, 0xffff, v6
	ds_store_2addr_b64 v4, v[48:49], v[17:18] offset1:10
	ds_store_2addr_b64 v4, v[36:37], v[50:51] offset0:20 offset1:30
	ds_store_b64 v4, v[2:3] offset:320
	v_and_b32_e32 v47, 0xff, v1
	v_mul_u32_u24_e32 v1, 0x147b, v23
	v_mul_u32_u24_e32 v2, 0x147b, v20
	v_sub_nc_u16 v0, v81, v5
	v_lshrrev_b16 v4, 1, v79
	s_waitcnt lgkmcnt(0)
	v_lshrrev_b32_e32 v19, 17, v1
	v_lshrrev_b32_e32 v17, 17, v2
	v_and_b32_e32 v18, 0xffff, v0
	v_lshrrev_b16 v1, 1, v80
	v_lshlrev_b32_e32 v0, 4, v47
	v_mul_lo_u16 v2, v19, 50
	v_mul_lo_u16 v3, v17, 50
	s_barrier
	v_and_b32_e32 v22, 0xffff, v1
	v_lshlrev_b32_e32 v1, 4, v18
	buffer_gl0_inv
	v_sub_nc_u16 v8, v82, v2
	v_sub_nc_u16 v9, v78, v3
	v_and_b32_e32 v21, 0xffff, v4
	s_clause 0x1
	global_load_b128 v[4:7], v0, s[4:5] offset:320
	global_load_b128 v[0:3], v1, s[4:5] offset:320
	v_mul_u32_u24_e32 v10, 0x147b, v22
	v_and_b32_e32 v46, 0xffff, v8
	v_and_b32_e32 v40, 0xffff, v9
	v_mul_u32_u24_e32 v8, 0x147b, v21
	v_add_nc_u32_e32 v28, 0x32a, v60
	v_lshrrev_b32_e32 v33, 17, v10
	v_lshlrev_b32_e32 v9, 4, v46
	v_lshlrev_b32_e32 v10, 4, v40
	v_lshrrev_b32_e32 v32, 17, v8
	s_clause 0x1
	global_load_b128 v[12:15], v9, s[4:5] offset:320
	global_load_b128 v[8:11], v10, s[4:5] offset:320
	ds_load_2addr_b64 v[99:102], v72 offset0:12 offset1:147
	v_mul_lo_u16 v24, v33, 50
	v_lshrrev_b16 v25, 1, v28
	v_mul_lo_u16 v26, v32, 50
	v_lshrrev_b16 v34, 1, v30
	ds_load_2addr_b64 v[95:98], v75 offset0:70 offset1:205
	v_sub_nc_u16 v27, v80, v24
	v_and_b32_e32 v24, 0xffff, v25
	v_sub_nc_u16 v26, v79, v26
	v_and_b32_e32 v45, 0xffff, v45
	v_mul_u32_u24_e32 v16, 0x4b0, v16
	v_and_b32_e32 v41, 0xffff, v27
	v_mul_u32_u24_e32 v27, 0x147b, v24
	v_and_b32_e32 v43, 0xffff, v26
	v_mul_u32_u24_e32 v45, 0x4b0, v45
	v_lshlrev_b32_e32 v47, 3, v47
	v_lshlrev_b32_e32 v37, 4, v41
	v_lshrrev_b32_e32 v42, 17, v27
	v_and_b32_e32 v27, 0xffff, v34
	v_mul_u32_u24_e32 v19, 0x4b0, v19
	v_lshlrev_b32_e32 v18, 3, v18
	global_load_b128 v[48:51], v37, s[4:5] offset:320
	v_mul_lo_u16 v36, v42, 50
	v_mul_u32_u24_e32 v38, 0x147b, v27
	v_mul_u32_u24_e32 v151, 0x4b0, v17
	v_lshlrev_b32_e32 v17, 3, v46
	v_add3_u32 v45, 0, v45, v47
	v_sub_nc_u16 v44, v28, v36
	v_lshrrev_b32_e32 v36, 17, v38
	v_add3_u32 v46, 0, v16, v18
	v_add3_u32 v47, 0, v19, v17
	v_mul_u32_u24_e32 v33, 0x4b0, v33
	v_and_b32_e32 v44, 0xffff, v44
	v_mul_u32_u24_e32 v32, 0x4b0, v32
	v_mul_u32_u24_e32 v42, 0x4b0, v42
	s_waitcnt vmcnt(4) lgkmcnt(1)
	v_mul_f32_e32 v153, v7, v100
	s_waitcnt vmcnt(3) lgkmcnt(0)
	v_dual_mul_f32 v155, v102, v3 :: v_dual_mul_f32 v152, v5, v96
	v_mul_f32_e32 v5, v5, v95
	v_mul_f32_e32 v7, v7, v99
	v_fmac_f32_e32 v153, v6, v99
	v_add_nc_u32_e32 v29, 0x3b1, v60
	v_dual_fmac_f32 v155, v101, v2 :: v_dual_fmac_f32 v152, v4, v95
	v_fma_f32 v4, v4, v96, -v5
	v_fma_f32 v5, v6, v100, -v7
	s_delay_alu instid0(VALU_DEP_4) | instskip(NEXT) | instid1(VALU_DEP_1)
	v_lshrrev_b16 v31, 1, v29
	v_dual_mul_f32 v154, v98, v1 :: v_dual_and_b32 v25, 0xffff, v31
	v_add_nc_u32_e32 v31, 0x4bf, v60
	s_delay_alu instid0(VALU_DEP_2) | instskip(NEXT) | instid1(VALU_DEP_3)
	v_fmac_f32_e32 v154, v97, v0
	v_mul_u32_u24_e32 v26, 0x147b, v25
	s_delay_alu instid0(VALU_DEP_3) | instskip(NEXT) | instid1(VALU_DEP_2)
	v_lshrrev_b16 v34, 1, v31
	v_lshrrev_b32_e32 v35, 17, v26
	s_delay_alu instid0(VALU_DEP_2) | instskip(SKIP_1) | instid1(VALU_DEP_3)
	v_and_b32_e32 v26, 0xffff, v34
	v_lshlrev_b32_e32 v34, 4, v43
	v_mul_lo_u16 v39, v35, 50
	s_delay_alu instid0(VALU_DEP_3) | instskip(SKIP_4) | instid1(VALU_DEP_3)
	v_mul_u32_u24_e32 v38, 0x147b, v26
	global_load_b128 v[52:55], v34, s[4:5] offset:320
	v_mul_lo_u16 v34, v36, 50
	v_sub_nc_u16 v39, v29, v39
	v_lshrrev_b32_e32 v37, 17, v38
	v_sub_nc_u16 v34, v30, v34
	s_delay_alu instid0(VALU_DEP_3) | instskip(SKIP_1) | instid1(VALU_DEP_4)
	v_and_b32_e32 v38, 0xffff, v39
	v_lshlrev_b32_e32 v39, 4, v44
	v_mul_lo_u16 v83, v37, 50
	v_lshlrev_b32_e32 v44, 3, v44
	s_delay_alu instid0(VALU_DEP_4)
	v_lshlrev_b32_e32 v84, 4, v38
	global_load_b128 v[56:59], v39, s[4:5] offset:320
	v_and_b32_e32 v39, 0xffff, v34
	v_sub_nc_u16 v34, v31, v83
	global_load_b128 v[83:86], v84, s[4:5] offset:320
	v_lshlrev_b32_e32 v87, 4, v39
	v_and_b32_e32 v34, 0xffff, v34
	global_load_b128 v[87:90], v87, s[4:5] offset:320
	v_lshlrev_b32_e32 v91, 4, v34
	global_load_b128 v[91:94], v91, s[4:5] offset:320
	ds_load_2addr_b64 v[103:106], v68 offset0:84 offset1:219
	ds_load_2addr_b64 v[107:110], v76 offset0:26 offset1:161
	;; [unrolled: 1-line block ×8, first 2 shown]
	ds_load_2addr_b64 v[135:138], v64 offset1:135
	ds_load_2addr_b64 v[139:142], v71 offset0:14 offset1:149
	ds_load_2addr_b64 v[143:146], v74 offset0:28 offset1:163
	;; [unrolled: 1-line block ×4, first 2 shown]
	s_waitcnt vmcnt(0) lgkmcnt(0)
	s_barrier
	buffer_gl0_inv
	v_mul_f32_e32 v158, v106, v9
	v_dual_mul_f32 v95, v110, v11 :: v_dual_mul_f32 v156, v104, v13
	v_mul_f32_e32 v13, v103, v13
	v_mul_f32_e32 v6, v105, v9
	;; [unrolled: 1-line block ×3, first 2 shown]
	v_fmac_f32_e32 v158, v105, v8
	v_fmac_f32_e32 v95, v109, v10
	v_mul_f32_e32 v157, v108, v15
	v_mul_f32_e32 v96, v112, v49
	v_fmac_f32_e32 v156, v103, v12
	v_fma_f32 v12, v104, v12, -v13
	v_fma_f32 v6, v106, v8, -v6
	;; [unrolled: 1-line block ×3, first 2 shown]
	v_dual_add_f32 v104, v158, v95 :: v_dual_fmac_f32 v157, v107, v14
	v_fmac_f32_e32 v96, v111, v48
	v_mul_f32_e32 v15, v107, v15
	v_add_f32_e32 v105, v141, v158
	v_sub_f32_e32 v107, v6, v100
	v_fma_f32 v141, -0.5, v104, v141
	v_mul_f32_e32 v1, v97, v1
	v_fma_f32 v13, v108, v14, -v15
	v_mul_f32_e32 v9, v115, v51
	v_dual_sub_f32 v103, v156, v157 :: v_dual_add_f32 v106, v142, v6
	s_delay_alu instid0(VALU_DEP_4) | instskip(SKIP_1) | instid1(VALU_DEP_1)
	v_fma_f32 v0, v98, v0, -v1
	v_dual_mul_f32 v1, v111, v49 :: v_dual_add_f32 v108, v6, v100
	v_fma_f32 v48, v112, v48, -v1
	s_delay_alu instid0(VALU_DEP_2) | instskip(NEXT) | instid1(VALU_DEP_1)
	v_dual_fmac_f32 v142, -0.5, v108 :: v_dual_lshlrev_b32 v43, 3, v43
	v_add3_u32 v32, 0, v32, v43
	v_dual_mul_f32 v97, v124, v59 :: v_dual_mul_f32 v98, v122, v84
	v_mul_f32_e32 v14, v121, v84
	v_mul_f32_e32 v84, v126, v86
	;; [unrolled: 1-line block ×3, first 2 shown]
	s_delay_alu instid0(VALU_DEP_4)
	v_fmac_f32_e32 v97, v123, v58
	v_mul_f32_e32 v49, v116, v51
	v_dual_mul_f32 v51, v114, v53 :: v_dual_mul_f32 v86, v128, v88
	v_mul_f32_e32 v8, v127, v88
	v_mul_f32_e32 v88, v132, v90
	v_mul_f32_e32 v90, v131, v90
	v_fmac_f32_e32 v98, v121, v83
	v_dual_fmac_f32 v86, v127, v87 :: v_dual_mul_f32 v99, v130, v92
	s_delay_alu instid0(VALU_DEP_4)
	v_fmac_f32_e32 v88, v131, v89
	v_fmac_f32_e32 v49, v115, v50
	v_mul_f32_e32 v3, v101, v3
	v_dual_mul_f32 v7, v129, v92 :: v_dual_mul_f32 v92, v134, v94
	v_mul_f32_e32 v10, v133, v94
	v_fmac_f32_e32 v84, v125, v85
	s_delay_alu instid0(VALU_DEP_4)
	v_fma_f32 v11, v102, v2, -v3
	v_dual_mul_f32 v2, v113, v53 :: v_dual_mul_f32 v53, v118, v55
	v_mul_f32_e32 v3, v117, v55
	v_mul_f32_e32 v55, v120, v57
	;; [unrolled: 1-line block ×4, first 2 shown]
	v_fma_f32 v50, v116, v50, -v9
	v_add_f32_e32 v9, v0, v11
	v_fmac_f32_e32 v53, v117, v54
	v_fma_f32 v54, v118, v54, -v3
	v_fmac_f32_e32 v55, v119, v56
	v_fma_f32 v56, v120, v56, -v57
	v_fma_f32 v57, v124, v58, -v59
	;; [unrolled: 1-line block ×6, first 2 shown]
	v_fmac_f32_e32 v51, v113, v52
	v_fma_f32 v52, v114, v52, -v2
	v_fmac_f32_e32 v99, v129, v91
	v_fmac_f32_e32 v92, v133, v93
	v_fma_f32 v89, v134, v93, -v10
	v_add_f32_e32 v2, v136, v4
	v_add_f32_e32 v1, v152, v153
	;; [unrolled: 1-line block ×3, first 2 shown]
	v_sub_f32_e32 v14, v4, v5
	v_add_f32_e32 v4, v135, v152
	v_dual_add_f32 v8, v137, v154 :: v_dual_add_f32 v93, v140, v12
	v_sub_f32_e32 v94, v12, v13
	v_add_f32_e32 v12, v12, v13
	v_add_f32_e32 v102, v156, v157
	v_fma_f32 v87, v130, v91, -v7
	v_add_f32_e32 v10, v138, v0
	v_dual_fmac_f32 v138, -0.5, v9 :: v_dual_add_f32 v7, v154, v155
	v_sub_f32_e32 v15, v152, v153
	v_sub_f32_e32 v90, v0, v11
	v_fma_f32 v0, -0.5, v1, v135
	v_fma_f32 v1, -0.5, v3, v136
	v_add_f32_e32 v3, v2, v5
	v_add_f32_e32 v2, v4, v153
	;; [unrolled: 1-line block ×3, first 2 shown]
	v_fma_f32 v8, -0.5, v102, v139
	v_fma_f32 v9, -0.5, v12, v140
	v_sub_f32_e32 v91, v154, v155
	v_fma_f32 v137, -0.5, v7, v137
	v_add_f32_e32 v101, v139, v156
	v_add_f32_e32 v5, v10, v11
	v_fmamk_f32 v10, v14, 0xbf5db3d7, v0
	v_dual_fmamk_f32 v11, v15, 0x3f5db3d7, v1 :: v_dual_fmac_f32 v0, 0x3f5db3d7, v14
	v_dual_fmac_f32 v1, 0xbf5db3d7, v15 :: v_dual_fmamk_f32 v14, v94, 0xbf5db3d7, v8
	v_dual_fmamk_f32 v15, v103, 0x3f5db3d7, v9 :: v_dual_fmac_f32 v8, 0x3f5db3d7, v94
	v_fmac_f32_e32 v9, 0xbf5db3d7, v103
	v_dual_add_f32 v7, v93, v13 :: v_dual_fmamk_f32 v12, v90, 0xbf5db3d7, v137
	v_fmamk_f32 v13, v91, 0x3f5db3d7, v138
	v_fmac_f32_e32 v137, 0x3f5db3d7, v90
	v_fmac_f32_e32 v138, 0xbf5db3d7, v91
	v_add_f32_e32 v6, v101, v157
	ds_store_2addr_b64 v45, v[2:3], v[10:11] offset1:50
	ds_store_b64 v45, v[0:1] offset:800
	ds_store_2addr_b64 v46, v[4:5], v[12:13] offset1:50
	ds_store_b64 v46, v[137:138] offset:800
	;; [unrolled: 2-line block ×3, first 2 shown]
	v_dual_add_f32 v9, v52, v54 :: v_dual_add_f32 v10, v146, v52
	v_dual_add_f32 v40, v149, v98 :: v_dual_lshlrev_b32 v3, 3, v40
	v_sub_f32_e32 v15, v56, v57
	s_delay_alu instid0(VALU_DEP_3) | instskip(NEXT) | instid1(VALU_DEP_3)
	v_dual_fmac_f32 v146, -0.5, v9 :: v_dual_add_f32 v9, v10, v54
	v_dual_add_f32 v10, v55, v97 :: v_dual_add_f32 v45, v40, v84
	v_sub_f32_e32 v40, v58, v59
	v_sub_f32_e32 v4, v158, v95
	v_add_f32_e32 v1, v106, v100
	s_delay_alu instid0(VALU_DEP_4)
	v_fma_f32 v10, -0.5, v10, v147
	v_add_f32_e32 v0, v105, v95
	v_fmamk_f32 v2, v107, 0xbf5db3d7, v141
	v_add3_u32 v90, 0, v151, v3
	v_fmamk_f32 v3, v4, 0x3f5db3d7, v142
	v_dual_add_f32 v5, v96, v49 :: v_dual_fmamk_f32 v14, v15, 0xbf5db3d7, v10
	v_dual_fmac_f32 v10, 0x3f5db3d7, v15 :: v_dual_add_f32 v15, v98, v84
	ds_store_2addr_b64 v90, v[0:1], v[2:3] offset1:50
	v_add_f32_e32 v1, v144, v48
	v_fma_f32 v0, -0.5, v5, v143
	v_sub_f32_e32 v5, v48, v50
	v_dual_add_f32 v6, v48, v50 :: v_dual_add_f32 v7, v51, v53
	v_add_f32_e32 v48, v58, v59
	v_fma_f32 v149, -0.5, v15, v149
	v_add_f32_e32 v3, v1, v50
	s_delay_alu instid0(VALU_DEP_4)
	v_fma_f32 v1, -0.5, v6, v144
	v_add_f32_e32 v8, v145, v51
	v_fma_f32 v145, -0.5, v7, v145
	v_sub_f32_e32 v7, v52, v54
	v_dual_sub_f32 v11, v51, v53 :: v_dual_add_f32 v46, v150, v58
	v_fmac_f32_e32 v150, -0.5, v48
	v_fmamk_f32 v48, v40, 0xbf5db3d7, v149
	v_fmac_f32_e32 v149, 0x3f5db3d7, v40
	v_add_f32_e32 v40, v86, v88
	v_sub_f32_e32 v6, v96, v49
	v_fmac_f32_e32 v142, 0xbf5db3d7, v4
	v_fmamk_f32 v4, v5, 0xbf5db3d7, v0
	v_fmac_f32_e32 v0, 0x3f5db3d7, v5
	v_sub_f32_e32 v47, v55, v97
	v_fmamk_f32 v5, v6, 0x3f5db3d7, v1
	v_fmac_f32_e32 v1, 0xbf5db3d7, v6
	v_fmamk_f32 v6, v7, 0xbf5db3d7, v145
	v_fmac_f32_e32 v145, 0x3f5db3d7, v7
	v_fmamk_f32 v7, v11, 0x3f5db3d7, v146
	v_dual_fmac_f32 v146, 0xbf5db3d7, v11 :: v_dual_add_f32 v11, v56, v57
	v_add_f32_e32 v2, v143, v96
	v_sub_f32_e32 v50, v98, v84
	v_add_f32_e32 v13, v148, v56
	v_add_f32_e32 v51, v17, v83
	v_fma_f32 v11, -0.5, v11, v148
	v_add_f32_e32 v2, v2, v49
	v_fmamk_f32 v49, v50, 0x3f5db3d7, v150
	v_fmac_f32_e32 v150, 0xbf5db3d7, v50
	s_delay_alu instid0(VALU_DEP_4) | instskip(SKIP_4) | instid1(VALU_DEP_3)
	v_dual_sub_f32 v56, v86, v88 :: v_dual_fmamk_f32 v15, v47, 0x3f5db3d7, v11
	v_fmac_f32_e32 v11, 0xbf5db3d7, v47
	v_add_f32_e32 v47, v16, v86
	v_fma_f32 v16, -0.5, v40, v16
	v_dual_add_f32 v40, v83, v85 :: v_dual_fmac_f32 v141, 0x3f5db3d7, v107
	v_dual_add_f32 v13, v13, v57 :: v_dual_add_f32 v50, v47, v88
	v_add_f32_e32 v8, v8, v53
	v_sub_f32_e32 v53, v83, v85
	s_delay_alu instid0(VALU_DEP_4) | instskip(SKIP_2) | instid1(VALU_DEP_4)
	v_fma_f32 v17, -0.5, v40, v17
	v_dual_add_f32 v40, v99, v92 :: v_dual_add_f32 v47, v18, v99
	v_add_f32_e32 v46, v46, v59
	v_fmamk_f32 v52, v53, 0xbf5db3d7, v16
	v_dual_fmac_f32 v16, 0x3f5db3d7, v53 :: v_dual_add_f32 v53, v19, v87
	v_add_f32_e32 v12, v147, v55
	v_fma_f32 v18, -0.5, v40, v18
	v_add_f32_e32 v54, v47, v92
	v_sub_f32_e32 v47, v87, v89
	v_add_f32_e32 v55, v53, v89
	v_fmamk_f32 v53, v56, 0x3f5db3d7, v17
	v_dual_fmac_f32 v17, 0xbf5db3d7, v56 :: v_dual_lshlrev_b32 v56, 3, v41
	v_add_f32_e32 v12, v12, v97
	v_fmamk_f32 v40, v47, 0xbf5db3d7, v18
	v_dual_fmac_f32 v18, 0x3f5db3d7, v47 :: v_dual_add_f32 v51, v51, v85
	s_delay_alu instid0(VALU_DEP_4)
	v_add3_u32 v33, 0, v33, v56
	ds_store_b64 v90, v[141:142] offset:800
	ds_store_2addr_b64 v33, v[2:3], v[4:5] offset1:50
	v_add3_u32 v2, 0, v42, v44
	ds_store_b64 v33, v[0:1] offset:800
	ds_store_2addr_b64 v32, v[8:9], v[6:7] offset1:50
	ds_store_b64 v32, v[145:146] offset:800
	v_mul_u32_u24_e32 v0, 0xda75, v23
	v_mul_u32_u24_e32 v1, 0x4b0, v35
	v_lshlrev_b32_e32 v3, 3, v38
	ds_store_2addr_b64 v2, v[12:13], v[14:15] offset1:50
	ds_store_b64 v2, v[10:11] offset:800
	v_lshrrev_b32_e32 v47, 22, v0
	v_mul_u32_u24_e32 v0, 0x4b0, v36
	v_lshlrev_b32_e32 v2, 3, v39
	v_add3_u32 v1, 0, v1, v3
	v_add_f32_e32 v57, v87, v89
	v_mul_u32_u24_e32 v4, 0xda75, v20
	v_mul_u32_u24_e32 v3, 0x4b0, v37
	v_add3_u32 v0, 0, v0, v2
	ds_store_2addr_b64 v1, v[45:46], v[48:49] offset1:50
	ds_store_b64 v1, v[149:150] offset:800
	v_fmac_f32_e32 v19, -0.5, v57
	v_sub_f32_e32 v57, v99, v92
	ds_store_2addr_b64 v0, v[50:51], v[52:53] offset1:50
	ds_store_b64 v0, v[16:17] offset:800
	v_mul_u32_u24_e32 v0, 0xda75, v22
	v_mul_lo_u16 v5, 0x96, v47
	v_lshlrev_b32_e32 v6, 3, v34
	v_lshrrev_b32_e32 v33, 22, v4
	v_fmamk_f32 v41, v57, 0x3f5db3d7, v19
	v_lshrrev_b32_e32 v34, 22, v0
	v_mul_u32_u24_e32 v0, 0xda75, v21
	v_fmac_f32_e32 v19, 0xbf5db3d7, v57
	v_sub_nc_u16 v1, v82, v5
	v_add3_u32 v2, 0, v3, v6
	v_mul_lo_u16 v3, 0x96, v33
	v_lshrrev_b32_e32 v35, 22, v0
	v_mul_u32_u24_e32 v4, 0xda75, v25
	v_and_b32_e32 v45, 0xffff, v1
	ds_store_2addr_b64 v2, v[54:55], v[40:41] offset1:50
	v_sub_nc_u16 v1, v78, v3
	ds_store_b64 v2, v[18:19] offset:800
	v_mul_lo_u16 v2, 0x96, v34
	v_mul_u32_u24_e32 v3, 0xda75, v24
	v_mul_lo_u16 v9, 0x96, v35
	v_mul_u32_u24_e32 v11, 0xda75, v27
	v_lshrrev_b32_e32 v37, 22, v4
	v_sub_nc_u16 v8, v80, v2
	v_lshrrev_b32_e32 v38, 22, v3
	v_sub_nc_u16 v9, v79, v9
	v_lshrrev_b32_e32 v39, 22, v11
	v_mul_u32_u24_e32 v11, 0xda75, v26
	v_and_b32_e32 v40, 0xffff, v8
	v_mul_lo_u16 v8, 0x96, v38
	v_mul_lo_u16 v10, 0x96, v37
	v_and_b32_e32 v36, 0xffff, v1
	v_and_b32_e32 v41, 0xffff, v9
	v_mul_lo_u16 v13, 0x96, v39
	v_lshrrev_b32_e32 v14, 22, v11
	v_lshlrev_b32_e32 v1, 4, v45
	v_lshlrev_b32_e32 v9, 4, v40
	v_sub_nc_u16 v8, v28, v8
	v_sub_nc_u16 v10, v29, v10
	v_lshlrev_b32_e32 v0, 4, v36
	v_lshlrev_b32_e32 v12, 4, v41
	v_sub_nc_u16 v24, v30, v13
	v_mul_lo_u16 v25, 0x96, v14
	s_waitcnt lgkmcnt(0)
	s_barrier
	buffer_gl0_inv
	s_clause 0x1
	global_load_b128 v[4:7], v1, s[4:5] offset:1120
	global_load_b128 v[0:3], v0, s[4:5] offset:1120
	v_and_b32_e32 v44, 0xffff, v8
	v_and_b32_e32 v43, 0xffff, v10
	s_clause 0x1
	global_load_b128 v[20:23], v9, s[4:5] offset:1120
	global_load_b128 v[8:11], v12, s[4:5] offset:1120
	v_add_nc_u32_e32 v27, -15, v60
	v_and_b32_e32 v42, 0xffff, v24
	v_sub_nc_u16 v26, v31, v25
	v_dual_mov_b32 v25, 0 :: v_dual_lshlrev_b32 v24, 1, v60
	v_lshlrev_b32_e32 v12, 4, v44
	v_lshlrev_b32_e32 v15, 4, v43
	v_cndmask_b32_e64 v87, v27, v81, s0
	v_and_b32_e32 v46, 0xffff, v26
	v_lshlrev_b64 v[26:27], 3, v[24:25]
	s_clause 0x1
	global_load_b128 v[16:19], v12, s[4:5] offset:1120
	global_load_b128 v[12:15], v15, s[4:5] offset:1120
	v_dual_mov_b32 v53, v25 :: v_dual_lshlrev_b32 v32, 4, v42
	v_lshlrev_b32_e32 v52, 1, v87
	v_lshlrev_b32_e32 v87, 3, v87
	v_add_co_u32 v26, s0, s4, v26
	global_load_b128 v[48:51], v32, s[4:5] offset:1120
	v_lshlrev_b32_e32 v32, 4, v46
	v_add_co_ci_u32_e64 v27, s0, s5, v27, s0
	v_lshlrev_b64 v[83:84], 3, v[52:53]
	s_clause 0x1
	global_load_b128 v[52:55], v32, s[4:5] offset:1120
	global_load_b128 v[56:59], v[26:27], off offset:1120
	v_add_nc_u32_e32 v32, 0x2c00, v64
	v_lshlrev_b32_e32 v40, 3, v40
	v_mul_u32_u24_e32 v47, 0xe10, v47
	v_add_co_u32 v83, s0, s4, v83
	s_delay_alu instid0(VALU_DEP_1)
	v_add_co_ci_u32_e64 v84, s0, s5, v84, s0
	v_cmp_lt_u32_e64 s0, 14, v60
	v_lshlrev_b32_e32 v36, 3, v36
	v_mul_u32_u24_e32 v35, 0xe10, v35
	global_load_b128 v[83:86], v[83:84], off offset:1120
	v_cndmask_b32_e64 v88, 0, 0xe10, s0
	v_cmp_gt_u32_e64 s0, 45, v60
	s_delay_alu instid0(VALU_DEP_2)
	v_add3_u32 v147, 0, v88, v87
	ds_load_2addr_b64 v[87:90], v68 offset0:84 offset1:219
	ds_load_2addr_b64 v[91:94], v76 offset0:26 offset1:161
	;; [unrolled: 1-line block ×8, first 2 shown]
	ds_load_b64 v[143:144], v64 offset:10800
	ds_load_2addr_b64 v[119:122], v72 offset0:12 offset1:147
	ds_load_2addr_b32 v[145:146], v32 offset0:154 offset1:155
	ds_load_2addr_b64 v[123:126], v64 offset1:135
	ds_load_2addr_b64 v[127:130], v71 offset0:14 offset1:149
	ds_load_2addr_b64 v[131:134], v74 offset0:28 offset1:163
	ds_load_2addr_b64 v[135:138], v61 offset0:42 offset1:177
	ds_load_2addr_b64 v[139:142], v66 offset0:56 offset1:191
	s_waitcnt vmcnt(0) lgkmcnt(0)
	s_barrier
	buffer_gl0_inv
	v_mul_f32_e32 v148, v88, v5
	v_mul_f32_e32 v149, v92, v7
	v_dual_mul_f32 v7, v91, v7 :: v_dual_mul_f32 v150, v90, v1
	v_mul_f32_e32 v154, v98, v9
	s_delay_alu instid0(VALU_DEP_4) | instskip(NEXT) | instid1(VALU_DEP_4)
	v_fmac_f32_e32 v148, v87, v4
	v_fmac_f32_e32 v149, v91, v6
	v_mul_f32_e32 v9, v97, v9
	v_fmac_f32_e32 v150, v89, v0
	v_dual_fmac_f32 v154, v97, v8 :: v_dual_mul_f32 v5, v87, v5
	v_mul_f32_e32 v152, v96, v21
	v_mul_f32_e32 v153, v100, v23
	;; [unrolled: 1-line block ×3, first 2 shown]
	s_delay_alu instid0(VALU_DEP_4) | instskip(SKIP_2) | instid1(VALU_DEP_4)
	v_fma_f32 v87, v88, v4, -v5
	v_dual_mul_f32 v4, v103, v17 :: v_dual_mul_f32 v91, v108, v19
	v_mul_f32_e32 v5, v107, v19
	v_dual_mul_f32 v19, v106, v13 :: v_dual_fmac_f32 v156, v103, v16
	s_delay_alu instid0(VALU_DEP_3)
	v_fma_f32 v16, v104, v16, -v4
	v_mul_f32_e32 v151, v94, v3
	v_mul_f32_e32 v3, v93, v3
	v_fma_f32 v88, v92, v6, -v7
	v_fmac_f32_e32 v19, v105, v12
	v_dual_mul_f32 v155, v102, v11 :: v_dual_mul_f32 v6, v113, v53
	s_delay_alu instid0(VALU_DEP_4) | instskip(SKIP_2) | instid1(VALU_DEP_4)
	v_fma_f32 v92, v94, v2, -v3
	v_mul_f32_e32 v94, v114, v53
	v_mul_f32_e32 v157, v118, v55
	v_fmac_f32_e32 v155, v101, v10
	v_mul_f32_e32 v1, v89, v1
	s_delay_alu instid0(VALU_DEP_4)
	v_dual_mul_f32 v3, v115, v51 :: v_dual_fmac_f32 v94, v113, v52
	v_fma_f32 v52, v114, v52, -v6
	v_fmac_f32_e32 v157, v117, v54
	v_mul_f32_e32 v7, v117, v55
	v_fma_f32 v17, v90, v0, -v1
	v_mul_f32_e32 v1, v109, v15
	v_fmac_f32_e32 v151, v93, v2
	v_mul_f32_e32 v93, v116, v51
	v_fma_f32 v51, v98, v8, -v9
	v_mul_f32_e32 v9, v146, v84
	v_mul_f32_e32 v53, v84, v145
	v_fma_f32 v84, v118, v54, -v7
	v_add_f32_e32 v54, v142, v52
	v_mul_f32_e32 v0, v105, v13
	v_mul_f32_e32 v13, v57, v144
	v_fmac_f32_e32 v91, v107, v18
	s_delay_alu instid0(VALU_DEP_4)
	v_dual_mul_f32 v21, v95, v21 :: v_dual_add_f32 v54, v54, v84
	v_fmac_f32_e32 v93, v115, v50
	v_fma_f32 v50, v116, v50, -v3
	v_mul_f32_e32 v89, v110, v15
	v_mul_f32_e32 v15, v57, v143
	v_fma_f32 v57, v106, v12, -v0
	v_mul_f32_e32 v23, v99, v23
	v_fmac_f32_e32 v13, v56, v143
	v_mul_f32_e32 v90, v112, v49
	v_fma_f32 v0, v56, v144, -v15
	v_add_f32_e32 v56, v52, v84
	v_mul_f32_e32 v2, v111, v49
	v_fmac_f32_e32 v152, v95, v20
	v_fma_f32 v20, v96, v20, -v21
	v_fmac_f32_e32 v153, v99, v22
	v_fma_f32 v21, v100, v22, -v23
	v_mul_f32_e32 v22, v59, v120
	v_mul_f32_e32 v8, v121, v86
	v_fmac_f32_e32 v142, -0.5, v56
	v_dual_sub_f32 v56, v94, v157 :: v_dual_mul_f32 v23, v59, v119
	v_mul_f32_e32 v49, v122, v86
	v_mul_f32_e32 v11, v101, v11
	v_fma_f32 v59, v110, v14, -v1
	v_fmac_f32_e32 v90, v111, v48
	v_fma_f32 v48, v112, v48, -v2
	v_fmac_f32_e32 v22, v58, v119
	;; [unrolled: 2-line block ×4, first 2 shown]
	v_fma_f32 v1, v146, v83, -v53
	v_fma_f32 v55, v102, v10, -v11
	;; [unrolled: 1-line block ×3, first 2 shown]
	v_add_f32_e32 v5, v13, v22
	v_dual_add_f32 v6, v0, v2 :: v_dual_add_f32 v7, v123, v13
	v_sub_f32_e32 v11, v13, v22
	v_add_f32_e32 v13, v1, v4
	v_add_f32_e32 v15, v9, v49
	v_fmac_f32_e32 v89, v109, v14
	v_add_f32_e32 v3, v124, v0
	v_sub_f32_e32 v10, v0, v2
	v_add_f32_e32 v8, v126, v1
	v_sub_f32_e32 v12, v1, v4
	;; [unrolled: 2-line block ×3, first 2 shown]
	v_add_f32_e32 v9, v148, v149
	v_add_f32_e32 v53, v87, v88
	v_fma_f32 v0, -0.5, v5, v123
	v_fma_f32 v1, -0.5, v6, v124
	;; [unrolled: 1-line block ×3, first 2 shown]
	v_dual_fmac_f32 v126, -0.5, v13 :: v_dual_add_f32 v3, v3, v2
	v_dual_add_f32 v2, v7, v22 :: v_dual_add_f32 v5, v8, v4
	v_add_f32_e32 v4, v14, v49
	v_fma_f32 v6, -0.5, v9, v127
	v_fma_f32 v7, -0.5, v53, v128
	v_fmamk_f32 v8, v10, 0xbf5db3d7, v0
	v_dual_fmamk_f32 v9, v11, 0x3f5db3d7, v1 :: v_dual_fmac_f32 v0, 0x3f5db3d7, v10
	v_fmac_f32_e32 v1, 0xbf5db3d7, v11
	v_fmamk_f32 v10, v12, 0xbf5db3d7, v125
	v_fmac_f32_e32 v125, 0x3f5db3d7, v12
	v_add_f32_e32 v12, v127, v148
	v_fmamk_f32 v11, v23, 0x3f5db3d7, v126
	v_fmac_f32_e32 v126, 0xbf5db3d7, v23
	v_dual_add_f32 v13, v128, v87 :: v_dual_lshlrev_b32 v14, 3, v45
	v_dual_sub_f32 v22, v87, v88 :: v_dual_sub_f32 v23, v148, v149
	s_delay_alu instid0(VALU_DEP_2) | instskip(NEXT) | instid1(VALU_DEP_3)
	v_dual_add_f32 v12, v12, v149 :: v_dual_add_f32 v13, v13, v88
	v_add3_u32 v45, 0, v47, v14
	s_delay_alu instid0(VALU_DEP_3) | instskip(NEXT) | instid1(VALU_DEP_4)
	v_fmamk_f32 v14, v22, 0xbf5db3d7, v6
	v_fmamk_f32 v15, v23, 0x3f5db3d7, v7
	ds_store_2addr_b64 v64, v[2:3], v[8:9] offset1:150
	ds_store_b64 v64, v[0:1] offset:2400
	ds_store_2addr_b64 v147, v[4:5], v[10:11] offset1:150
	ds_store_b64 v147, v[125:126] offset:2400
	ds_store_2addr_b64 v45, v[12:13], v[14:15] offset1:150
	v_add_f32_e32 v0, v150, v151
	v_add_f32_e32 v2, v129, v150
	v_add_f32_e32 v3, v17, v92
	v_dual_sub_f32 v4, v17, v92 :: v_dual_add_f32 v1, v130, v17
	s_delay_alu instid0(VALU_DEP_4) | instskip(NEXT) | instid1(VALU_DEP_4)
	v_fma_f32 v129, -0.5, v0, v129
	v_add_f32_e32 v0, v2, v151
	s_delay_alu instid0(VALU_DEP_4) | instskip(SKIP_1) | instid1(VALU_DEP_4)
	v_fmac_f32_e32 v130, -0.5, v3
	v_dual_sub_f32 v5, v150, v151 :: v_dual_add_f32 v8, v20, v21
	v_fmamk_f32 v2, v4, 0xbf5db3d7, v129
	v_dual_fmac_f32 v129, 0x3f5db3d7, v4 :: v_dual_add_f32 v4, v152, v153
	s_delay_alu instid0(VALU_DEP_3)
	v_fmamk_f32 v3, v5, 0x3f5db3d7, v130
	v_fmac_f32_e32 v130, 0xbf5db3d7, v5
	v_sub_f32_e32 v9, v20, v21
	v_fma_f32 v5, -0.5, v8, v132
	v_fma_f32 v4, -0.5, v4, v131
	v_sub_f32_e32 v10, v152, v153
	v_fmac_f32_e32 v6, 0x3f5db3d7, v22
	v_fmac_f32_e32 v7, 0xbf5db3d7, v23
	s_delay_alu instid0(VALU_DEP_4) | instskip(NEXT) | instid1(VALU_DEP_4)
	v_dual_add_f32 v11, v154, v155 :: v_dual_fmamk_f32 v8, v9, 0xbf5db3d7, v4
	v_dual_fmac_f32 v4, 0x3f5db3d7, v9 :: v_dual_fmamk_f32 v9, v10, 0x3f5db3d7, v5
	v_dual_fmac_f32 v5, 0xbf5db3d7, v10 :: v_dual_add_f32 v10, v51, v55
	ds_store_b64 v45, v[6:7] offset:2400
	v_dual_add_f32 v7, v132, v20 :: v_dual_add_f32 v12, v133, v154
	v_fma_f32 v133, -0.5, v11, v133
	v_add_f32_e32 v11, v134, v51
	v_dual_sub_f32 v13, v51, v55 :: v_dual_fmac_f32 v134, -0.5, v10
	v_sub_f32_e32 v15, v154, v155
	v_dual_add_f32 v14, v156, v91 :: v_dual_add_f32 v17, v135, v156
	v_dual_add_f32 v20, v136, v16 :: v_dual_add_f32 v7, v7, v21
	v_add_f32_e32 v10, v12, v155
	v_fmamk_f32 v12, v13, 0xbf5db3d7, v133
	v_fmac_f32_e32 v133, 0x3f5db3d7, v13
	v_fmamk_f32 v13, v15, 0x3f5db3d7, v134
	v_sub_f32_e32 v21, v16, v18
	v_fma_f32 v14, -0.5, v14, v135
	v_dual_fmac_f32 v134, 0xbf5db3d7, v15 :: v_dual_add_f32 v15, v16, v18
	v_dual_add_f32 v16, v17, v91 :: v_dual_add_f32 v17, v20, v18
	v_dual_add_f32 v20, v19, v89 :: v_dual_add_f32 v45, v57, v59
	s_delay_alu instid0(VALU_DEP_4)
	v_fmamk_f32 v18, v21, 0xbf5db3d7, v14
	v_fmac_f32_e32 v14, 0x3f5db3d7, v21
	v_fma_f32 v15, -0.5, v15, v136
	v_dual_add_f32 v21, v137, v19 :: v_dual_add_f32 v22, v138, v57
	v_sub_f32_e32 v23, v156, v91
	v_fma_f32 v137, -0.5, v20, v137
	v_dual_sub_f32 v47, v57, v59 :: v_dual_fmac_f32 v138, -0.5, v45
	v_sub_f32_e32 v45, v19, v89
	v_dual_add_f32 v20, v21, v89 :: v_dual_add_f32 v21, v22, v59
	v_fmamk_f32 v19, v23, 0x3f5db3d7, v15
	v_fmac_f32_e32 v15, 0xbf5db3d7, v23
	v_fmamk_f32 v22, v47, 0xbf5db3d7, v137
	v_fmac_f32_e32 v137, 0x3f5db3d7, v47
	v_add_f32_e32 v47, v90, v93
	v_fmamk_f32 v23, v45, 0x3f5db3d7, v138
	v_dual_fmac_f32 v138, 0xbf5db3d7, v45 :: v_dual_add_f32 v45, v48, v50
	v_add_f32_e32 v11, v11, v55
	v_add_f32_e32 v51, v140, v48
	v_sub_f32_e32 v53, v48, v50
	v_fma_f32 v47, -0.5, v47, v139
	v_fma_f32 v48, -0.5, v45, v140
	v_add_f32_e32 v45, v94, v157
	v_dual_sub_f32 v55, v90, v93 :: v_dual_add_f32 v50, v51, v50
	s_delay_alu instid0(VALU_DEP_4)
	v_fmamk_f32 v51, v53, 0xbf5db3d7, v47
	v_fmac_f32_e32 v47, 0x3f5db3d7, v53
	v_add_f32_e32 v53, v141, v94
	v_fma_f32 v141, -0.5, v45, v141
	v_dual_sub_f32 v45, v52, v84 :: v_dual_fmamk_f32 v52, v55, 0x3f5db3d7, v48
	v_fmac_f32_e32 v48, 0xbf5db3d7, v55
	v_mul_u32_u24_e32 v55, 0xe10, v33
	v_add_f32_e32 v6, v131, v152
	v_mul_u32_u24_e32 v57, 0xe10, v34
	v_add_f32_e32 v1, v1, v92
	v_lshlrev_b32_e32 v41, 3, v41
	v_add3_u32 v36, 0, v55, v36
	v_add_f32_e32 v6, v6, v153
	v_add3_u32 v40, 0, v57, v40
	ds_store_2addr_b64 v36, v[0:1], v[2:3] offset1:150
	ds_store_b64 v36, v[129:130] offset:2400
	ds_store_2addr_b64 v40, v[6:7], v[8:9] offset1:150
	v_mul_u32_u24_e32 v1, 0xe10, v38
	v_lshlrev_b32_e32 v2, 3, v44
	v_add3_u32 v0, 0, v35, v41
	ds_store_b64 v40, v[4:5] offset:2400
	ds_store_2addr_b64 v0, v[10:11], v[12:13] offset1:150
	ds_store_b64 v0, v[133:134] offset:2400
	v_add3_u32 v0, 0, v1, v2
	v_mul_u32_u24_e32 v1, 0xe10, v39
	v_lshlrev_b32_e32 v2, 3, v42
	v_mul_u32_u24_e32 v3, 0xe10, v37
	v_dual_add_f32 v49, v139, v90 :: v_dual_lshlrev_b32 v6, 3, v43
	v_lshl_add_u32 v4, v46, 3, 0
	ds_store_2addr_b64 v0, v[16:17], v[18:19] offset1:150
	ds_store_b64 v0, v[14:15] offset:2400
	v_add3_u32 v0, 0, v1, v2
	v_subrev_nc_u32_e32 v1, 45, v60
	v_add3_u32 v3, 0, v3, v6
	v_and_b32_e32 v12, 0xffff, v29
	v_add_f32_e32 v49, v49, v93
	v_add_f32_e32 v53, v53, v157
	v_fmamk_f32 v33, v45, 0xbf5db3d7, v141
	v_fmamk_f32 v34, v56, 0x3f5db3d7, v142
	v_add_nc_u32_e32 v2, 0x7000, v4
	v_cndmask_b32_e64 v8, v1, v78, s0
	v_fmac_f32_e32 v141, 0x3f5db3d7, v45
	v_fmac_f32_e32 v142, 0xbf5db3d7, v56
	ds_store_2addr_b64 v3, v[20:21], v[22:23] offset1:150
	ds_store_b64 v3, v[137:138] offset:2400
	ds_store_2addr_b64 v0, v[49:50], v[51:52] offset1:150
	ds_store_b64 v0, v[47:48] offset:2400
	v_dual_mov_b32 v1, v25 :: v_dual_lshlrev_b32 v0, 1, v82
	ds_store_2addr_b64 v2, v[53:54], v[33:34] offset0:16 offset1:166
	ds_store_b64 v4, v[141:142] offset:31200
	v_dual_mov_b32 v3, v25 :: v_dual_lshlrev_b32 v2, 1, v8
	v_and_b32_e32 v9, 0xffff, v28
	v_lshlrev_b64 v[0:1], 3, v[0:1]
	v_mul_u32_u24_e32 v12, 0x91a3, v12
	s_waitcnt lgkmcnt(0)
	v_lshlrev_b64 v[2:3], 3, v[2:3]
	v_mul_u32_u24_e32 v9, 0x91a3, v9
	s_barrier
	v_add_co_u32 v4, s0, s4, v0
	s_delay_alu instid0(VALU_DEP_1) | instskip(SKIP_4) | instid1(VALU_DEP_4)
	v_add_co_ci_u32_e64 v5, s0, s5, v1, s0
	v_dual_mov_b32 v1, v25 :: v_dual_add_nc_u32 v0, 0xb4, v24
	v_add_co_u32 v6, s0, s4, v2
	v_add_nc_u32_e32 v24, 0x1c2, v24
	v_add_co_ci_u32_e64 v7, s0, s5, v3, s0
	v_lshlrev_b64 v[10:11], 3, v[0:1]
	buffer_gl0_inv
	s_clause 0x1
	global_load_b128 v[0:3], v[4:5], off offset:3520
	global_load_b128 v[14:17], v[6:7], off offset:3520
	v_lshlrev_b64 v[6:7], 3, v[24:25]
	v_lshrrev_b32_e32 v9, 24, v9
	v_lshrrev_b32_e32 v12, 24, v12
	v_add_co_u32 v10, s0, s4, v10
	s_delay_alu instid0(VALU_DEP_1)
	v_add_co_ci_u32_e64 v11, s0, s5, v11, s0
	v_add_co_u32 v6, s0, s4, v6
	v_mul_lo_u16 v13, 0x1c2, v9
	v_mul_lo_u16 v12, 0x1c2, v12
	v_and_b32_e32 v18, 0xffff, v30
	v_add_co_ci_u32_e64 v7, s0, s5, v7, s0
	s_delay_alu instid0(VALU_DEP_4) | instskip(NEXT) | instid1(VALU_DEP_4)
	v_sub_nc_u16 v13, v28, v13
	v_sub_nc_u16 v12, v29, v12
	s_delay_alu instid0(VALU_DEP_4)
	v_mul_u32_u24_e32 v22, 0x91a3, v18
	s_clause 0x1
	global_load_b128 v[18:21], v[10:11], off offset:3520
	global_load_b128 v[33:36], v[6:7], off offset:3520
	v_and_b32_e32 v7, 0xffff, v31
	v_and_b32_e32 v13, 0xffff, v13
	;; [unrolled: 1-line block ×3, first 2 shown]
	v_lshrrev_b32_e32 v11, 24, v22
	v_lshlrev_b32_e32 v6, 1, v81
	v_mul_u32_u24_e32 v12, 0x91a3, v7
	v_lshlrev_b32_e32 v22, 4, v13
	v_lshlrev_b32_e32 v23, 4, v10
	v_mul_lo_u16 v11, 0x1c2, v11
	v_mov_b32_e32 v7, v25
	v_lshrrev_b32_e32 v12, 24, v12
	s_clause 0x2
	global_load_b128 v[37:40], v22, s[4:5] offset:3520
	global_load_b128 v[41:44], v23, s[4:5] offset:3520
	global_load_b128 v[45:48], v[26:27], off offset:3520
	v_sub_nc_u16 v11, v30, v11
	v_lshlrev_b64 v[6:7], 3, v[6:7]
	v_mul_lo_u16 v22, 0x1c2, v12
	v_lshlrev_b32_e32 v8, 3, v8
	v_mul_u32_u24_e32 v9, 0x2a30, v9
	v_and_b32_e32 v12, 0xffff, v11
	s_delay_alu instid0(VALU_DEP_4) | instskip(SKIP_1) | instid1(VALU_DEP_1)
	v_sub_nc_u16 v11, v31, v22
	v_add_co_u32 v6, s0, s4, v6
	v_add_co_ci_u32_e64 v7, s0, s5, v7, s0
	s_delay_alu instid0(VALU_DEP_4) | instskip(NEXT) | instid1(VALU_DEP_4)
	v_lshlrev_b32_e32 v22, 4, v12
	v_and_b32_e32 v11, 0xffff, v11
	v_cmp_lt_u32_e64 s0, 44, v60
	s_clause 0x1
	global_load_b128 v[49:52], v[6:7], off offset:3520
	global_load_b128 v[53:56], v22, s[4:5] offset:3520
	v_lshlrev_b32_e32 v22, 4, v11
	global_load_b128 v[81:84], v22, s[4:5] offset:3520
	ds_load_2addr_b64 v[85:88], v68 offset0:84 offset1:219
	ds_load_2addr_b64 v[89:92], v76 offset0:26 offset1:161
	ds_load_2addr_b64 v[93:96], v70 offset0:98 offset1:233
	ds_load_b64 v[22:23], v64 offset:10800
	ds_load_2addr_b64 v[97:100], v67 offset0:40 offset1:175
	ds_load_2addr_b64 v[101:104], v72 offset0:12 offset1:147
	ds_load_2addr_b32 v[57:58], v32 offset0:154 offset1:155
	ds_load_2addr_b64 v[105:108], v73 offset0:112 offset1:247
	ds_load_2addr_b64 v[109:112], v69 offset0:54 offset1:189
	;; [unrolled: 1-line block ×4, first 2 shown]
	ds_load_2addr_b64 v[121:124], v64 offset1:135
	ds_load_2addr_b64 v[125:128], v71 offset0:14 offset1:149
	ds_load_2addr_b64 v[129:132], v74 offset0:28 offset1:163
	s_waitcnt vmcnt(9) lgkmcnt(13)
	v_mul_f32_e32 v24, v86, v1
	v_mul_f32_e32 v1, v85, v1
	s_waitcnt lgkmcnt(12)
	v_mul_f32_e32 v59, v90, v3
	s_waitcnt vmcnt(8)
	v_dual_mul_f32 v3, v89, v3 :: v_dual_mul_f32 v134, v92, v17
	v_fmac_f32_e32 v24, v85, v0
	v_fma_f32 v85, v86, v0, -v1
	s_delay_alu instid0(VALU_DEP_3) | instskip(NEXT) | instid1(VALU_DEP_4)
	v_fma_f32 v86, v90, v2, -v3
	v_fmac_f32_e32 v134, v91, v16
	s_waitcnt vmcnt(6) lgkmcnt(9)
	v_dual_mul_f32 v136, v98, v21 :: v_dual_mul_f32 v137, v96, v34
	v_mul_f32_e32 v138, v100, v36
	v_mul_f32_e32 v34, v95, v34
	;; [unrolled: 1-line block ×3, first 2 shown]
	s_delay_alu instid0(VALU_DEP_4) | instskip(NEXT) | instid1(VALU_DEP_4)
	v_dual_fmac_f32 v136, v97, v20 :: v_dual_fmac_f32 v137, v95, v33
	v_fmac_f32_e32 v138, v99, v35
	s_delay_alu instid0(VALU_DEP_4)
	v_fma_f32 v90, v96, v33, -v34
	s_waitcnt vmcnt(5) lgkmcnt(5)
	v_mul_f32_e32 v140, v110, v40
	s_waitcnt vmcnt(4)
	v_mul_f32_e32 v142, v112, v44
	s_waitcnt vmcnt(3)
	v_mul_f32_e32 v144, v48, v102
	v_dual_mul_f32 v48, v48, v101 :: v_dual_mul_f32 v143, v46, v23
	v_mul_f32_e32 v46, v46, v22
	v_mul_f32_e32 v44, v111, v44
	s_delay_alu instid0(VALU_DEP_4) | instskip(NEXT) | instid1(VALU_DEP_4)
	v_fmac_f32_e32 v144, v47, v101
	v_fma_f32 v34, v47, v102, -v48
	v_sub_f32_e32 v47, v137, v138
	v_mul_f32_e32 v17, v91, v17
	v_fma_f32 v91, v100, v35, -v36
	v_dual_fmac_f32 v140, v109, v39 :: v_dual_mul_f32 v141, v108, v42
	v_fma_f32 v33, v45, v23, -v46
	v_fma_f32 v95, v112, v43, -v44
	s_delay_alu instid0(VALU_DEP_4)
	v_add_f32_e32 v46, v90, v91
	s_waitcnt lgkmcnt(0)
	v_add_f32_e32 v44, v132, v90
	s_waitcnt vmcnt(2)
	v_mul_f32_e32 v145, v104, v52
	s_waitcnt vmcnt(1)
	v_dual_mul_f32 v52, v103, v52 :: v_dual_mul_f32 v147, v114, v54
	v_mul_f32_e32 v0, v113, v54
	v_mul_f32_e32 v1, v117, v56
	v_fmac_f32_e32 v141, v107, v41
	v_mul_f32_e32 v139, v106, v38
	v_mul_f32_e32 v38, v105, v38
	v_fmac_f32_e32 v132, -0.5, v46
	v_mul_f32_e32 v40, v109, v40
	v_dual_fmac_f32 v59, v89, v2 :: v_dual_mul_f32 v54, v118, v56
	s_waitcnt vmcnt(0)
	v_mul_f32_e32 v2, v115, v82
	v_fma_f32 v35, v104, v51, -v52
	v_fmac_f32_e32 v147, v113, v53
	v_fma_f32 v52, v114, v53, -v0
	v_mul_f32_e32 v89, v116, v82
	v_mul_f32_e32 v82, v120, v84
	v_fma_f32 v53, v118, v55, -v1
	v_mul_f32_e32 v3, v119, v84
	v_fmamk_f32 v46, v47, 0x3f5db3d7, v132
	v_fmac_f32_e32 v132, 0xbf5db3d7, v47
	v_fma_f32 v84, v92, v16, -v17
	v_fma_f32 v92, v106, v37, -v38
	v_mul_f32_e32 v135, v94, v19
	v_dual_mul_f32 v19, v93, v19 :: v_dual_mul_f32 v146, v58, v50
	v_mul_f32_e32 v50, v50, v57
	v_fmac_f32_e32 v54, v117, v55
	s_delay_alu instid0(VALU_DEP_4)
	v_fmac_f32_e32 v135, v93, v18
	v_fmac_f32_e32 v139, v105, v37
	v_mul_f32_e32 v133, v88, v15
	v_fma_f32 v93, v110, v39, -v40
	v_mul_f32_e32 v15, v87, v15
	v_fmac_f32_e32 v143, v45, v22
	s_delay_alu instid0(VALU_DEP_4) | instskip(SKIP_1) | instid1(VALU_DEP_4)
	v_dual_fmac_f32 v146, v49, v57 :: v_dual_fmac_f32 v133, v87, v14
	v_fma_f32 v57, v116, v81, -v2
	v_fma_f32 v56, v88, v14, -v15
	;; [unrolled: 1-line block ×4, first 2 shown]
	v_fmac_f32_e32 v145, v103, v51
	v_add_f32_e32 v0, v143, v144
	v_add_f32_e32 v2, v33, v34
	v_dual_sub_f32 v16, v14, v35 :: v_dual_add_f32 v37, v124, v14
	s_delay_alu instid0(VALU_DEP_4)
	v_add_f32_e32 v15, v146, v145
	v_dual_add_f32 v14, v14, v35 :: v_dual_mul_f32 v21, v97, v21
	v_fma_f32 v87, v94, v18, -v19
	v_sub_f32_e32 v1, v33, v34
	v_sub_f32_e32 v3, v143, v144
	v_add_f32_e32 v36, v123, v146
	v_fma_f32 v18, -0.5, v0, v121
	v_sub_f32_e32 v0, v146, v145
	v_fma_f32 v19, -0.5, v2, v122
	v_fma_f32 v123, -0.5, v15, v123
	v_fmac_f32_e32 v124, -0.5, v14
	v_mul_f32_e32 v42, v107, v42
	v_fma_f32 v88, v98, v20, -v21
	v_fmamk_f32 v20, v1, 0xbf5db3d7, v18
	v_dual_fmac_f32 v18, 0x3f5db3d7, v1 :: v_dual_fmamk_f32 v21, v3, 0x3f5db3d7, v19
	v_fmac_f32_e32 v19, 0xbf5db3d7, v3
	v_fmamk_f32 v22, v16, 0xbf5db3d7, v123
	v_fmac_f32_e32 v123, 0x3f5db3d7, v16
	v_fmamk_f32 v23, v0, 0x3f5db3d7, v124
	v_fmac_f32_e32 v124, 0xbf5db3d7, v0
	v_dual_add_f32 v39, v121, v143 :: v_dual_add_nc_u32 v38, 0x1c00, v64
	v_add_f32_e32 v33, v122, v33
	v_fma_f32 v94, v108, v41, -v42
	ds_load_2addr_b64 v[14:17], v61 offset0:42 offset1:177
	ds_load_2addr_b64 v[0:3], v66 offset0:56 offset1:191
	s_waitcnt lgkmcnt(0)
	s_barrier
	buffer_gl0_inv
	ds_store_2addr_b64 v38, v[18:19], v[123:124] offset0:4 offset1:139
	v_add_f32_e32 v18, v39, v144
	v_dual_add_f32 v38, v125, v24 :: v_dual_add_f32 v39, v126, v85
	v_add_f32_e32 v19, v33, v34
	v_dual_add_f32 v33, v36, v145 :: v_dual_add_f32 v34, v37, v35
	v_add_f32_e32 v50, v94, v95
	s_delay_alu instid0(VALU_DEP_4)
	v_dual_add_f32 v35, v38, v59 :: v_dual_add_f32 v36, v39, v86
	v_add_f32_e32 v38, v85, v86
	ds_store_2addr_b64 v64, v[18:19], v[33:34] offset1:135
	ds_store_2addr_b64 v71, v[35:36], v[20:21] offset0:14 offset1:194
	v_dual_add_f32 v19, v133, v134 :: v_dual_add_f32 v40, v24, v59
	v_fma_f32 v38, -0.5, v38, v126
	v_dual_sub_f32 v20, v24, v59 :: v_dual_add_f32 v21, v127, v133
	s_delay_alu instid0(VALU_DEP_3) | instskip(SKIP_2) | instid1(VALU_DEP_4)
	v_fma_f32 v127, -0.5, v19, v127
	v_sub_f32_e32 v24, v56, v84
	v_add_f32_e32 v33, v56, v84
	v_fmamk_f32 v19, v20, 0x3f5db3d7, v38
	v_fmac_f32_e32 v38, 0xbf5db3d7, v20
	v_add_f32_e32 v34, v128, v56
	v_fmamk_f32 v20, v24, 0xbf5db3d7, v127
	v_dual_fmac_f32 v127, 0x3f5db3d7, v24 :: v_dual_fmac_f32 v128, -0.5, v33
	v_sub_f32_e32 v24, v133, v134
	v_fma_f32 v37, -0.5, v40, v125
	v_sub_f32_e32 v39, v85, v86
	v_add_f32_e32 v33, v21, v134
	v_dual_add_f32 v35, v135, v136 :: v_dual_add_f32 v36, v129, v135
	v_fmamk_f32 v21, v24, 0x3f5db3d7, v128
	v_fmac_f32_e32 v128, 0xbf5db3d7, v24
	v_add_f32_e32 v24, v87, v88
	v_fmamk_f32 v18, v39, 0xbf5db3d7, v37
	v_dual_fmac_f32 v37, 0x3f5db3d7, v39 :: v_dual_sub_f32 v42, v87, v88
	v_fma_f32 v35, -0.5, v35, v129
	v_add_f32_e32 v39, v36, v136
	v_fma_f32 v36, -0.5, v24, v130
	v_dual_add_f32 v24, v137, v138 :: v_dual_sub_f32 v45, v135, v136
	s_delay_alu instid0(VALU_DEP_4) | instskip(SKIP_1) | instid1(VALU_DEP_3)
	v_fmamk_f32 v41, v42, 0xbf5db3d7, v35
	v_dual_fmac_f32 v35, 0x3f5db3d7, v42 :: v_dual_add_f32 v42, v131, v137
	v_fma_f32 v131, -0.5, v24, v131
	v_sub_f32_e32 v24, v90, v91
	v_fmac_f32_e32 v142, v111, v43
	ds_store_2addr_b64 v74, v[22:23], v[18:19] offset0:73 offset1:208
	v_dual_add_f32 v43, v42, v138 :: v_dual_fmamk_f32 v42, v45, 0x3f5db3d7, v36
	v_dual_fmac_f32 v36, 0xbf5db3d7, v45 :: v_dual_fmamk_f32 v45, v24, 0xbf5db3d7, v131
	v_fmac_f32_e32 v131, 0x3f5db3d7, v24
	v_add_f32_e32 v24, v139, v140
	v_add_f32_e32 v22, v14, v139
	v_dual_add_f32 v18, v15, v92 :: v_dual_sub_f32 v23, v92, v93
	v_add_f32_e32 v56, v1, v52
	s_delay_alu instid0(VALU_DEP_4) | instskip(SKIP_1) | instid1(VALU_DEP_4)
	v_fma_f32 v14, -0.5, v24, v14
	v_add_f32_e32 v24, v92, v93
	v_add_f32_e32 v19, v18, v93
	v_dual_add_f32 v18, v22, v140 :: v_dual_add_f32 v55, v0, v147
	s_delay_alu instid0(VALU_DEP_4) | instskip(NEXT) | instid1(VALU_DEP_4)
	v_fmamk_f32 v22, v23, 0xbf5db3d7, v14
	v_fma_f32 v15, -0.5, v24, v15
	v_sub_f32_e32 v24, v139, v140
	v_dual_fmac_f32 v14, 0x3f5db3d7, v23 :: v_dual_sub_f32 v59, v52, v53
	v_sub_f32_e32 v49, v94, v95
	v_fmac_f32_e32 v89, v115, v81
	s_delay_alu instid0(VALU_DEP_4) | instskip(SKIP_4) | instid1(VALU_DEP_4)
	v_fmamk_f32 v23, v24, 0x3f5db3d7, v15
	v_dual_fmac_f32 v15, 0xbf5db3d7, v24 :: v_dual_add_f32 v24, v17, v94
	v_dual_fmac_f32 v17, -0.5, v50 :: v_dual_fmac_f32 v82, v119, v83
	v_add_f32_e32 v34, v34, v84
	v_add_f32_e32 v40, v130, v87
	;; [unrolled: 1-line block ×3, first 2 shown]
	v_dual_add_f32 v24, v147, v54 :: v_dual_lshlrev_b32 v13, 3, v13
	v_add_f32_e32 v44, v44, v91
	s_delay_alu instid0(VALU_DEP_4)
	v_add_f32_e32 v40, v40, v88
	ds_store_b64 v64, v[37:38] offset:9360
	v_fma_f32 v0, -0.5, v24, v0
	v_add_f32_e32 v24, v52, v53
	v_add_f32_e32 v52, v56, v53
	;; [unrolled: 1-line block ×3, first 2 shown]
	s_delay_alu instid0(VALU_DEP_4) | instskip(SKIP_2) | instid1(VALU_DEP_4)
	v_fmamk_f32 v53, v59, 0xbf5db3d7, v0
	v_fmac_f32_e32 v0, 0x3f5db3d7, v59
	v_fma_f32 v1, -0.5, v24, v1
	v_add_f32_e32 v56, v56, v58
	v_dual_add_f32 v47, v141, v142 :: v_dual_add_f32 v48, v16, v141
	v_sub_f32_e32 v51, v141, v142
	v_dual_sub_f32 v59, v147, v54 :: v_dual_add_f32 v24, v2, v89
	s_delay_alu instid0(VALU_DEP_3) | instskip(NEXT) | instid1(VALU_DEP_1)
	v_fma_f32 v16, -0.5, v47, v16
	v_fmamk_f32 v47, v49, 0xbf5db3d7, v16
	v_dual_fmac_f32 v16, 0x3f5db3d7, v49 :: v_dual_add_f32 v49, v48, v142
	v_fmamk_f32 v48, v51, 0x3f5db3d7, v17
	v_fmac_f32_e32 v17, 0xbf5db3d7, v51
	v_add_f32_e32 v51, v55, v54
	v_add_f32_e32 v54, v57, v58
	;; [unrolled: 1-line block ×3, first 2 shown]
	s_delay_alu instid0(VALU_DEP_2)
	v_fmac_f32_e32 v3, -0.5, v54
	v_fmamk_f32 v54, v59, 0x3f5db3d7, v1
	v_fmac_f32_e32 v1, 0xbf5db3d7, v59
	v_cndmask_b32_e64 v59, 0, 0x2a30, s0
	v_fma_f32 v2, -0.5, v55, v2
	v_add_f32_e32 v55, v24, v82
	v_sub_f32_e32 v24, v57, v58
	s_delay_alu instid0(VALU_DEP_4)
	v_add3_u32 v8, 0, v59, v8
	ds_store_b64 v8, v[33:34]
	ds_store_b64 v8, v[20:21] offset:3600
	ds_store_b64 v8, v[127:128] offset:7200
	v_add3_u32 v8, 0, v9, v13
	v_fmamk_f32 v57, v24, 0xbf5db3d7, v2
	v_fmac_f32_e32 v2, 0x3f5db3d7, v24
	v_dual_sub_f32 v81, v89, v82 :: v_dual_add_nc_u32 v24, 0x4800, v64
	ds_store_2addr_b64 v32, v[39:40], v[43:44] offset0:32 offset1:167
	ds_store_2addr_b64 v70, v[41:42], v[45:46] offset0:98 offset1:233
	;; [unrolled: 1-line block ×3, first 2 shown]
	v_lshl_add_u32 v9, v10, 3, 0
	ds_store_b64 v8, v[18:19]
	ds_store_b64 v8, v[22:23] offset:3600
	ds_store_b64 v8, v[14:15] offset:7200
	v_lshl_add_u32 v8, v12, 3, 0
	v_lshlrev_b32_e32 v24, 1, v78
	v_lshl_add_u32 v10, v11, 3, 0
	v_fmamk_f32 v58, v81, 0x3f5db3d7, v3
	v_fmac_f32_e32 v3, 0xbf5db3d7, v81
	ds_store_b64 v9, v[49:50] offset:21600
	ds_store_b64 v9, v[47:48] offset:25200
	;; [unrolled: 1-line block ×9, first 2 shown]
	v_lshlrev_b64 v[0:1], 3, v[24:25]
	v_add_co_u32 v2, s0, 0x2000, v4
	v_lshlrev_b32_e32 v24, 1, v80
	v_add_co_ci_u32_e64 v3, s0, 0, v5, s0
	s_delay_alu instid0(VALU_DEP_4) | instskip(NEXT) | instid1(VALU_DEP_1)
	v_add_co_u32 v4, s0, s4, v0
	v_add_co_ci_u32_e64 v5, s0, s5, v1, s0
	s_delay_alu instid0(VALU_DEP_4) | instskip(NEXT) | instid1(VALU_DEP_3)
	v_lshlrev_b64 v[0:1], 3, v[24:25]
	v_add_co_u32 v4, s0, 0x2000, v4
	v_lshlrev_b32_e32 v24, 1, v79
	s_delay_alu instid0(VALU_DEP_4) | instskip(NEXT) | instid1(VALU_DEP_4)
	v_add_co_ci_u32_e64 v5, s0, 0, v5, s0
	v_add_co_u32 v8, s0, s4, v0
	s_delay_alu instid0(VALU_DEP_1) | instskip(NEXT) | instid1(VALU_DEP_4)
	v_add_co_ci_u32_e64 v9, s0, s5, v1, s0
	v_lshlrev_b64 v[0:1], 3, v[24:25]
	s_delay_alu instid0(VALU_DEP_3) | instskip(SKIP_1) | instid1(VALU_DEP_4)
	v_add_co_u32 v12, s0, 0x2000, v8
	v_lshlrev_b32_e32 v24, 1, v28
	v_add_co_ci_u32_e64 v13, s0, 0, v9, s0
	s_delay_alu instid0(VALU_DEP_4) | instskip(NEXT) | instid1(VALU_DEP_1)
	v_add_co_u32 v0, s0, s4, v0
	v_add_co_ci_u32_e64 v1, s0, s5, v1, s0
	s_delay_alu instid0(VALU_DEP_4) | instskip(NEXT) | instid1(VALU_DEP_3)
	v_lshlrev_b64 v[20:21], 3, v[24:25]
	v_add_co_u32 v16, s0, 0x2000, v0
	v_lshlrev_b32_e32 v24, 1, v29
	s_delay_alu instid0(VALU_DEP_4) | instskip(NEXT) | instid1(VALU_DEP_4)
	v_add_co_ci_u32_e64 v17, s0, 0, v1, s0
	v_add_co_u32 v20, s0, s4, v20
	s_waitcnt lgkmcnt(0)
	s_barrier
	buffer_gl0_inv
	s_clause 0x3
	global_load_b128 v[0:3], v[2:3], off offset:2528
	global_load_b128 v[8:11], v[4:5], off offset:2528
	global_load_b128 v[12:15], v[12:13], off offset:2528
	global_load_b128 v[16:19], v[16:17], off offset:2528
	v_add_co_ci_u32_e64 v21, s0, s5, v21, s0
	v_lshlrev_b64 v[4:5], 3, v[24:25]
	v_add_co_u32 v20, s0, 0x2000, v20
	s_delay_alu instid0(VALU_DEP_1) | instskip(SKIP_1) | instid1(VALU_DEP_4)
	v_add_co_ci_u32_e64 v21, s0, 0, v21, s0
	v_lshlrev_b32_e32 v24, 1, v30
	v_add_co_u32 v4, s0, s4, v4
	s_delay_alu instid0(VALU_DEP_1) | instskip(NEXT) | instid1(VALU_DEP_3)
	v_add_co_ci_u32_e64 v5, s0, s5, v5, s0
	v_lshlrev_b64 v[37:38], 3, v[24:25]
	s_delay_alu instid0(VALU_DEP_3) | instskip(NEXT) | instid1(VALU_DEP_1)
	v_add_co_u32 v4, s0, 0x2000, v4
	v_add_co_ci_u32_e64 v5, s0, 0, v5, s0
	v_add_co_u32 v33, s0, 0x2000, v26
	s_delay_alu instid0(VALU_DEP_1) | instskip(SKIP_4) | instid1(VALU_DEP_1)
	v_add_co_ci_u32_e64 v34, s0, 0, v27, s0
	v_add_co_u32 v35, s0, 0x2000, v6
	v_lshlrev_b32_e32 v24, 1, v31
	v_add_co_ci_u32_e64 v36, s0, 0, v7, s0
	v_add_co_u32 v37, s0, s4, v37
	v_add_co_ci_u32_e64 v38, s0, s5, v38, s0
	s_delay_alu instid0(VALU_DEP_4) | instskip(NEXT) | instid1(VALU_DEP_3)
	v_lshlrev_b64 v[30:31], 3, v[24:25]
	v_add_co_u32 v37, s0, 0x2000, v37
	s_delay_alu instid0(VALU_DEP_1) | instskip(SKIP_4) | instid1(VALU_DEP_1)
	v_add_co_ci_u32_e64 v38, s0, 0, v38, s0
	s_clause 0x1
	global_load_b128 v[20:23], v[20:21], off offset:2528
	global_load_b128 v[26:29], v[4:5], off offset:2528
	v_add_co_u32 v24, s0, s4, v30
	v_add_co_ci_u32_e64 v31, s0, s5, v31, s0
	s_clause 0x1
	global_load_b128 v[4:7], v[33:34], off offset:2528
	global_load_b128 v[33:36], v[35:36], off offset:2528
	v_add_co_u32 v30, s0, 0x2000, v24
	s_delay_alu instid0(VALU_DEP_1)
	v_add_co_ci_u32_e64 v31, s0, 0, v31, s0
	s_clause 0x1
	global_load_b128 v[37:40], v[37:38], off offset:2528
	global_load_b128 v[41:44], v[30:31], off offset:2528
	ds_load_2addr_b64 v[45:48], v68 offset0:84 offset1:219
	ds_load_2addr_b64 v[49:52], v76 offset0:26 offset1:161
	ds_load_2addr_b64 v[53:56], v64 offset1:135
	ds_load_2addr_b64 v[78:81], v70 offset0:98 offset1:233
	ds_load_b64 v[30:31], v64 offset:10800
	ds_load_2addr_b64 v[82:85], v67 offset0:40 offset1:175
	ds_load_2addr_b64 v[86:89], v72 offset0:12 offset1:147
	;; [unrolled: 1-line block ×4, first 2 shown]
	ds_load_2addr_b32 v[57:58], v32 offset0:154 offset1:155
	ds_load_2addr_b64 v[98:101], v71 offset0:14 offset1:149
	ds_load_2addr_b64 v[102:105], v65 offset0:62 offset1:197
	;; [unrolled: 1-line block ×5, first 2 shown]
	s_waitcnt vmcnt(8) lgkmcnt(13)
	v_dual_mul_f32 v32, v50, v3 :: v_dual_mul_f32 v59, v48, v9
	s_waitcnt vmcnt(7) lgkmcnt(11)
	v_mul_f32_e32 v119, v79, v13
	s_waitcnt lgkmcnt(9)
	v_mul_f32_e32 v120, v83, v15
	v_mul_f32_e32 v118, v52, v11
	s_waitcnt vmcnt(6)
	v_mul_f32_e32 v122, v85, v19
	v_mul_f32_e32 v24, v46, v1
	v_fmac_f32_e32 v119, v78, v12
	v_dual_fmac_f32 v120, v82, v14 :: v_dual_mul_f32 v121, v81, v17
	v_fmac_f32_e32 v118, v51, v10
	v_dual_fmac_f32 v122, v84, v18 :: v_dual_mul_f32 v3, v49, v3
	v_mul_f32_e32 v15, v82, v15
	v_dual_mul_f32 v17, v80, v17 :: v_dual_fmac_f32 v32, v49, v2
	v_dual_fmac_f32 v24, v45, v0 :: v_dual_mul_f32 v19, v84, v19
	s_waitcnt vmcnt(5) lgkmcnt(6)
	v_mul_f32_e32 v124, v95, v23
	s_waitcnt vmcnt(4)
	v_mul_f32_e32 v125, v93, v27
	v_mul_f32_e32 v126, v97, v29
	;; [unrolled: 1-line block ×5, first 2 shown]
	s_waitcnt vmcnt(3)
	v_mul_f32_e32 v127, v5, v31
	v_dual_mul_f32 v5, v5, v30 :: v_dual_mul_f32 v128, v7, v87
	v_fmac_f32_e32 v124, v94, v22
	v_fmac_f32_e32 v125, v92, v26
	;; [unrolled: 1-line block ×4, first 2 shown]
	v_mul_f32_e32 v23, v94, v23
	v_fmac_f32_e32 v59, v47, v8
	v_mul_f32_e32 v13, v78, v13
	v_mul_f32_e32 v1, v45, v1
	v_fma_f32 v78, v91, v20, -v21
	v_fma_f32 v80, v93, v26, -v27
	v_fmac_f32_e32 v123, v90, v20
	v_fmac_f32_e32 v127, v4, v30
	v_fma_f32 v5, v4, v31, -v5
	v_fmac_f32_e32 v128, v6, v86
	s_waitcnt vmcnt(0) lgkmcnt(3)
	v_mul_f32_e32 v4, v104, v42
	v_sub_f32_e32 v26, v59, v118
	v_fma_f32 v49, v79, v12, -v13
	v_fma_f32 v79, v95, v22, -v23
	v_mul_f32_e32 v7, v7, v86
	v_dual_mul_f32 v9, v47, v9 :: v_dual_add_f32 v22, v100, v59
	v_dual_mul_f32 v129, v58, v34 :: v_dual_mul_f32 v130, v89, v36
	v_mul_f32_e32 v34, v34, v57
	v_fma_f32 v45, v46, v0, -v1
	v_fma_f32 v46, v50, v2, -v3
	;; [unrolled: 1-line block ×3, first 2 shown]
	v_mul_f32_e32 v11, v51, v11
	v_fma_f32 v7, v6, v87, -v7
	v_mul_f32_e32 v0, v102, v38
	v_fma_f32 v86, v105, v41, -v4
	v_add_f32_e32 v4, v127, v128
	v_mul_f32_e32 v36, v88, v36
	v_fma_f32 v47, v48, v8, -v9
	v_fma_f32 v48, v52, v10, -v11
	v_dual_fmac_f32 v130, v88, v35 :: v_dual_fmac_f32 v129, v33, v57
	s_waitcnt lgkmcnt(2)
	v_mul_f32_e32 v82, v107, v40
	v_fma_f32 v12, v58, v33, -v34
	v_fma_f32 v58, v103, v37, -v0
	v_mul_f32_e32 v6, v108, v44
	v_add_f32_e32 v8, v53, v127
	v_add_f32_e32 v9, v5, v7
	v_fma_f32 v4, -0.5, v4, v53
	s_waitcnt lgkmcnt(1)
	v_dual_sub_f32 v10, v5, v7 :: v_dual_add_f32 v33, v112, v121
	v_mul_f32_e32 v29, v96, v29
	v_fma_f32 v51, v81, v16, -v17
	v_fma_f32 v11, v89, v35, -v36
	v_fmac_f32_e32 v82, v106, v39
	v_fma_f32 v87, v109, v43, -v6
	v_fma_f32 v81, v97, v28, -v29
	v_dual_mul_f32 v57, v103, v38 :: v_dual_add_f32 v6, v8, v128
	v_add_f32_e32 v13, v54, v5
	v_fma_f32 v5, -0.5, v9, v54
	v_sub_f32_e32 v14, v127, v128
	v_fmamk_f32 v8, v10, 0xbf5db3d7, v4
	v_fmac_f32_e32 v4, 0x3f5db3d7, v10
	v_dual_add_f32 v10, v129, v130 :: v_dual_fmac_f32 v57, v102, v37
	v_add_f32_e32 v7, v13, v7
	v_fmamk_f32 v9, v14, 0x3f5db3d7, v5
	v_add_f32_e32 v13, v55, v129
	v_dual_fmac_f32 v5, 0xbf5db3d7, v14 :: v_dual_add_f32 v14, v12, v11
	v_fma_f32 v55, -0.5, v10, v55
	s_delay_alu instid0(VALU_DEP_3) | instskip(NEXT) | instid1(VALU_DEP_3)
	v_dual_sub_f32 v15, v12, v11 :: v_dual_add_f32 v10, v13, v130
	v_dual_add_f32 v13, v56, v12 :: v_dual_fmac_f32 v56, -0.5, v14
	v_sub_f32_e32 v14, v129, v130
	s_delay_alu instid0(VALU_DEP_3)
	v_fmamk_f32 v12, v15, 0xbf5db3d7, v55
	v_fmac_f32_e32 v55, 0x3f5db3d7, v15
	v_add_f32_e32 v15, v24, v32
	v_dual_add_f32 v16, v98, v24 :: v_dual_add_f32 v17, v45, v46
	v_add_f32_e32 v11, v13, v11
	v_fmamk_f32 v13, v14, 0x3f5db3d7, v56
	v_fmac_f32_e32 v56, 0xbf5db3d7, v14
	v_fma_f32 v14, -0.5, v15, v98
	v_add_f32_e32 v16, v16, v32
	v_add_f32_e32 v20, v99, v45
	v_fma_f32 v15, -0.5, v17, v99
	v_sub_f32_e32 v21, v24, v32
	v_sub_f32_e32 v32, v119, v120
	v_fma_f32 v52, v85, v18, -v19
	v_sub_f32_e32 v19, v45, v46
	v_dual_add_f32 v17, v20, v46 :: v_dual_add_f32 v24, v101, v47
	v_sub_f32_e32 v36, v121, v122
	v_add_f32_e32 v20, v59, v118
	s_delay_alu instid0(VALU_DEP_4)
	v_fmamk_f32 v18, v19, 0xbf5db3d7, v14
	v_dual_fmac_f32 v14, 0x3f5db3d7, v19 :: v_dual_fmamk_f32 v19, v21, 0x3f5db3d7, v15
	v_fmac_f32_e32 v15, 0xbf5db3d7, v21
	v_add_f32_e32 v21, v47, v48
	v_fma_f32 v100, -0.5, v20, v100
	v_dual_sub_f32 v23, v47, v48 :: v_dual_add_f32 v20, v22, v118
	v_add_f32_e32 v27, v110, v119
	s_delay_alu instid0(VALU_DEP_4) | instskip(SKIP_3) | instid1(VALU_DEP_4)
	v_fmac_f32_e32 v101, -0.5, v21
	v_add_f32_e32 v21, v24, v48
	v_add_f32_e32 v24, v119, v120
	v_fmamk_f32 v22, v23, 0xbf5db3d7, v100
	v_dual_fmac_f32 v100, 0x3f5db3d7, v23 :: v_dual_fmamk_f32 v23, v26, 0x3f5db3d7, v101
	v_fmac_f32_e32 v101, 0xbf5db3d7, v26
	s_delay_alu instid0(VALU_DEP_4) | instskip(SKIP_4) | instid1(VALU_DEP_4)
	v_fma_f32 v26, -0.5, v24, v110
	v_sub_f32_e32 v24, v49, v50
	v_dual_add_f32 v29, v49, v50 :: v_dual_add_f32 v28, v27, v120
	v_add_f32_e32 v31, v111, v49
	v_add_f32_e32 v34, v51, v52
	v_fmamk_f32 v30, v24, 0xbf5db3d7, v26
	v_fmac_f32_e32 v26, 0x3f5db3d7, v24
	v_add_f32_e32 v24, v121, v122
	v_fma_f32 v27, -0.5, v29, v111
	v_mul_f32_e32 v85, v109, v44
	v_dual_add_f32 v29, v31, v50 :: v_dual_add_f32 v44, v80, v81
	s_delay_alu instid0(VALU_DEP_4) | instskip(NEXT) | instid1(VALU_DEP_4)
	v_fma_f32 v112, -0.5, v24, v112
	v_dual_sub_f32 v24, v51, v52 :: v_dual_fmamk_f32 v31, v32, 0x3f5db3d7, v27
	v_dual_fmac_f32 v27, 0xbf5db3d7, v32 :: v_dual_add_f32 v32, v33, v122
	v_add_f32_e32 v33, v113, v51
	s_delay_alu instid0(VALU_DEP_3) | instskip(SKIP_3) | instid1(VALU_DEP_3)
	v_dual_fmac_f32 v113, -0.5, v34 :: v_dual_fmamk_f32 v34, v24, 0xbf5db3d7, v112
	v_fmac_f32_e32 v112, 0x3f5db3d7, v24
	s_waitcnt lgkmcnt(0)
	v_dual_add_f32 v24, v123, v124 :: v_dual_add_f32 v37, v114, v123
	v_fmamk_f32 v35, v36, 0x3f5db3d7, v113
	v_fmac_f32_e32 v113, 0xbf5db3d7, v36
	v_add_f32_e32 v33, v33, v52
	s_delay_alu instid0(VALU_DEP_4) | instskip(SKIP_4) | instid1(VALU_DEP_4)
	v_fma_f32 v36, -0.5, v24, v114
	v_sub_f32_e32 v24, v78, v79
	v_add_f32_e32 v38, v37, v124
	v_dual_sub_f32 v46, v125, v126 :: v_dual_fmac_f32 v85, v108, v43
	v_add_f32_e32 v43, v116, v125
	v_dual_mul_f32 v1, v106, v40 :: v_dual_fmamk_f32 v40, v24, 0xbf5db3d7, v36
	v_fmac_f32_e32 v36, 0x3f5db3d7, v24
	v_add_f32_e32 v24, v125, v126
	v_sub_f32_e32 v52, v86, v87
	s_delay_alu instid0(VALU_DEP_4)
	v_fma_f32 v84, v107, v39, -v1
	ds_load_2addr_b64 v[0:3], v66 offset0:56 offset1:191
	v_add_f32_e32 v39, v78, v79
	v_fma_f32 v116, -0.5, v24, v116
	v_dual_sub_f32 v24, v80, v81 :: v_dual_mul_f32 v83, v105, v42
	v_sub_f32_e32 v42, v123, v124
	s_delay_alu instid0(VALU_DEP_4)
	v_fma_f32 v37, -0.5, v39, v115
	v_add_f32_e32 v49, v58, v84
	s_waitcnt lgkmcnt(0)
	v_fmac_f32_e32 v83, v104, v41
	v_add_f32_e32 v41, v115, v78
	s_barrier
	buffer_gl0_inv
	v_add_f32_e32 v39, v41, v79
	v_fmamk_f32 v41, v42, 0x3f5db3d7, v37
	v_fmac_f32_e32 v37, 0xbf5db3d7, v42
	v_dual_add_f32 v42, v43, v126 :: v_dual_add_f32 v43, v117, v80
	v_dual_fmac_f32 v117, -0.5, v44 :: v_dual_fmamk_f32 v44, v24, 0xbf5db3d7, v116
	v_fmac_f32_e32 v116, 0x3f5db3d7, v24
	v_add_f32_e32 v24, v57, v82
	v_add_f32_e32 v48, v0, v57
	s_delay_alu instid0(VALU_DEP_4) | instskip(SKIP_1) | instid1(VALU_DEP_4)
	v_dual_add_f32 v50, v83, v85 :: v_dual_fmamk_f32 v45, v46, 0x3f5db3d7, v117
	v_add_f32_e32 v47, v1, v58
	v_fma_f32 v0, -0.5, v24, v0
	v_dual_sub_f32 v24, v58, v84 :: v_dual_fmac_f32 v117, 0xbf5db3d7, v46
	v_add_f32_e32 v46, v48, v82
	v_fma_f32 v1, -0.5, v49, v1
	s_delay_alu instid0(VALU_DEP_3)
	v_dual_add_f32 v51, v2, v83 :: v_dual_fmamk_f32 v48, v24, 0xbf5db3d7, v0
	v_fmac_f32_e32 v0, 0x3f5db3d7, v24
	v_sub_f32_e32 v24, v57, v82
	v_fma_f32 v2, -0.5, v50, v2
	v_add_f32_e32 v50, v86, v87
	v_sub_f32_e32 v54, v83, v85
	v_add_f32_e32 v43, v43, v81
	v_fmamk_f32 v49, v24, 0x3f5db3d7, v1
	v_dual_fmac_f32 v1, 0xbf5db3d7, v24 :: v_dual_add_f32 v24, v3, v86
	v_fmac_f32_e32 v3, -0.5, v50
	v_dual_add_f32 v47, v47, v84 :: v_dual_fmamk_f32 v50, v52, 0xbf5db3d7, v2
	v_fmac_f32_e32 v2, 0x3f5db3d7, v52
	s_delay_alu instid0(VALU_DEP_4) | instskip(NEXT) | instid1(VALU_DEP_4)
	v_dual_add_f32 v52, v51, v85 :: v_dual_add_f32 v53, v24, v87
	v_fmamk_f32 v51, v54, 0x3f5db3d7, v3
	v_fmac_f32_e32 v3, 0xbf5db3d7, v54
	ds_store_2addr_b64 v64, v[6:7], v[10:11] offset1:135
	ds_store_2addr_b64 v75, v[8:9], v[12:13] offset0:70 offset1:205
	ds_store_2addr_b64 v72, v[4:5], v[55:56] offset0:12 offset1:147
	;; [unrolled: 1-line block ×14, first 2 shown]
	s_waitcnt lgkmcnt(0)
	s_barrier
	buffer_gl0_inv
	s_and_saveexec_b32 s0, vcc_lo
	s_cbranch_execz .LBB0_19
; %bb.18:
	v_dual_mov_b32 v61, v25 :: v_dual_add_nc_u32 v24, 0x87, v60
	v_lshl_add_u32 v18, v60, 3, 0
	v_add_co_u32 v26, vcc_lo, s8, v62
	s_delay_alu instid0(VALU_DEP_3) | instskip(SKIP_1) | instid1(VALU_DEP_4)
	v_lshlrev_b64 v[4:5], 3, v[60:61]
	v_add_co_ci_u32_e32 v27, vcc_lo, s9, v63, vcc_lo
	v_add_nc_u32_e32 v6, 0x800, v18
	ds_load_2addr_b64 v[0:3], v18 offset1:135
	v_lshlrev_b64 v[8:9], 3, v[24:25]
	v_add_nc_u32_e32 v24, 0x10e, v60
	v_add_co_u32 v10, vcc_lo, v26, v4
	v_add_co_ci_u32_e32 v11, vcc_lo, v27, v5, vcc_lo
	ds_load_2addr_b64 v[4:7], v6 offset0:14 offset1:149
	v_lshlrev_b64 v[12:13], 3, v[24:25]
	v_add_nc_u32_e32 v24, 0x195, v60
	v_add_co_u32 v8, vcc_lo, v26, v8
	v_add_co_ci_u32_e32 v9, vcc_lo, v27, v9, vcc_lo
	s_delay_alu instid0(VALU_DEP_3) | instskip(SKIP_3) | instid1(VALU_DEP_4)
	v_lshlrev_b64 v[14:15], 3, v[24:25]
	v_add_co_u32 v12, vcc_lo, v26, v12
	v_add_nc_u32_e32 v24, 0x21c, v60
	v_add_co_ci_u32_e32 v13, vcc_lo, v27, v13, vcc_lo
	v_add_co_u32 v14, vcc_lo, v26, v14
	v_add_co_ci_u32_e32 v15, vcc_lo, v27, v15, vcc_lo
	v_add_nc_u32_e32 v19, 0x1000, v18
	v_lshlrev_b64 v[16:17], 3, v[24:25]
	v_add_nc_u32_e32 v24, 0x2a3, v60
	s_waitcnt lgkmcnt(1)
	s_clause 0x1
	global_store_b64 v[10:11], v[0:1], off
	global_store_b64 v[8:9], v[2:3], off
	s_waitcnt lgkmcnt(0)
	s_clause 0x1
	global_store_b64 v[12:13], v[4:5], off
	global_store_b64 v[14:15], v[6:7], off
	v_add_nc_u32_e32 v4, 0x1800, v18
	ds_load_2addr_b64 v[0:3], v19 offset0:28 offset1:163
	v_add_nc_u32_e32 v19, 0x2000, v18
	v_lshlrev_b64 v[8:9], 3, v[24:25]
	v_add_nc_u32_e32 v24, 0x32a, v60
	ds_load_2addr_b64 v[4:7], v4 offset0:42 offset1:177
	v_add_co_u32 v10, vcc_lo, v26, v16
	v_add_co_ci_u32_e32 v11, vcc_lo, v27, v17, vcc_lo
	v_lshlrev_b64 v[12:13], 3, v[24:25]
	v_add_nc_u32_e32 v24, 0x3b1, v60
	v_add_co_u32 v8, vcc_lo, v26, v8
	v_add_co_ci_u32_e32 v9, vcc_lo, v27, v9, vcc_lo
	s_delay_alu instid0(VALU_DEP_3) | instskip(SKIP_3) | instid1(VALU_DEP_4)
	v_lshlrev_b64 v[14:15], 3, v[24:25]
	v_add_co_u32 v12, vcc_lo, v26, v12
	v_add_nc_u32_e32 v24, 0x438, v60
	v_add_co_ci_u32_e32 v13, vcc_lo, v27, v13, vcc_lo
	v_add_co_u32 v14, vcc_lo, v26, v14
	v_add_co_ci_u32_e32 v15, vcc_lo, v27, v15, vcc_lo
	s_delay_alu instid0(VALU_DEP_4)
	v_lshlrev_b64 v[16:17], 3, v[24:25]
	v_add_nc_u32_e32 v24, 0x4bf, v60
	s_waitcnt lgkmcnt(1)
	s_clause 0x1
	global_store_b64 v[10:11], v[0:1], off
	global_store_b64 v[8:9], v[2:3], off
	s_waitcnt lgkmcnt(0)
	s_clause 0x1
	global_store_b64 v[12:13], v[4:5], off
	global_store_b64 v[14:15], v[6:7], off
	v_add_nc_u32_e32 v4, 0x2800, v18
	ds_load_2addr_b64 v[0:3], v19 offset0:56 offset1:191
	v_add_nc_u32_e32 v19, 0x3000, v18
	v_lshlrev_b64 v[8:9], 3, v[24:25]
	v_add_nc_u32_e32 v24, 0x546, v60
	ds_load_2addr_b64 v[4:7], v4 offset0:70 offset1:205
	v_add_co_u32 v10, vcc_lo, v26, v16
	v_add_co_ci_u32_e32 v11, vcc_lo, v27, v17, vcc_lo
	v_lshlrev_b64 v[12:13], 3, v[24:25]
	v_add_nc_u32_e32 v24, 0x5cd, v60
	v_add_co_u32 v8, vcc_lo, v26, v8
	v_add_co_ci_u32_e32 v9, vcc_lo, v27, v9, vcc_lo
	s_delay_alu instid0(VALU_DEP_3) | instskip(SKIP_3) | instid1(VALU_DEP_4)
	v_lshlrev_b64 v[14:15], 3, v[24:25]
	v_add_co_u32 v12, vcc_lo, v26, v12
	v_add_nc_u32_e32 v24, 0x654, v60
	v_add_co_ci_u32_e32 v13, vcc_lo, v27, v13, vcc_lo
	v_add_co_u32 v14, vcc_lo, v26, v14
	v_add_co_ci_u32_e32 v15, vcc_lo, v27, v15, vcc_lo
	s_delay_alu instid0(VALU_DEP_4)
	;; [unrolled: 30-line block ×4, first 2 shown]
	v_lshlrev_b64 v[16:17], 3, v[24:25]
	v_add_nc_u32_e32 v24, 0xb13, v60
	s_waitcnt lgkmcnt(1)
	s_clause 0x1
	global_store_b64 v[10:11], v[0:1], off
	global_store_b64 v[8:9], v[2:3], off
	s_waitcnt lgkmcnt(0)
	s_clause 0x1
	global_store_b64 v[12:13], v[4:5], off
	global_store_b64 v[14:15], v[6:7], off
	v_add_nc_u32_e32 v4, 0x5c00, v18
	ds_load_2addr_b64 v[0:3], v19 offset0:12 offset1:147
	v_add_nc_u32_e32 v19, 0x6400, v18
	v_lshlrev_b64 v[8:9], 3, v[24:25]
	v_add_nc_u32_e32 v24, 0xb9a, v60
	ds_load_2addr_b64 v[4:7], v4 offset0:26 offset1:161
	v_add_co_u32 v10, vcc_lo, v26, v16
	v_add_co_ci_u32_e32 v11, vcc_lo, v27, v17, vcc_lo
	v_lshlrev_b64 v[12:13], 3, v[24:25]
	v_add_nc_u32_e32 v24, 0xc21, v60
	v_add_co_u32 v8, vcc_lo, v26, v8
	v_add_co_ci_u32_e32 v9, vcc_lo, v27, v9, vcc_lo
	s_delay_alu instid0(VALU_DEP_3) | instskip(SKIP_3) | instid1(VALU_DEP_3)
	v_lshlrev_b64 v[14:15], 3, v[24:25]
	v_add_nc_u32_e32 v24, 0xca8, v60
	v_add_co_u32 v12, vcc_lo, v26, v12
	v_add_co_ci_u32_e32 v13, vcc_lo, v27, v13, vcc_lo
	v_lshlrev_b64 v[16:17], 3, v[24:25]
	v_add_nc_u32_e32 v24, 0xd2f, v60
	v_add_co_u32 v14, vcc_lo, v26, v14
	v_add_co_ci_u32_e32 v15, vcc_lo, v27, v15, vcc_lo
	s_waitcnt lgkmcnt(1)
	s_clause 0x1
	global_store_b64 v[10:11], v[0:1], off
	global_store_b64 v[8:9], v[2:3], off
	s_waitcnt lgkmcnt(0)
	s_clause 0x1
	global_store_b64 v[12:13], v[4:5], off
	global_store_b64 v[14:15], v[6:7], off
	v_lshlrev_b64 v[4:5], 3, v[24:25]
	v_add_nc_u32_e32 v24, 0xdb6, v60
	v_add_co_u32 v12, vcc_lo, v26, v16
	v_add_nc_u32_e32 v6, 0x6c00, v18
	v_add_co_ci_u32_e32 v13, vcc_lo, v27, v17, vcc_lo
	s_delay_alu instid0(VALU_DEP_4)
	v_lshlrev_b64 v[8:9], 3, v[24:25]
	v_add_nc_u32_e32 v24, 0xe3d, v60
	v_add_co_u32 v14, vcc_lo, v26, v4
	v_add_nc_u32_e32 v10, 0x7400, v18
	ds_load_2addr_b64 v[0:3], v19 offset0:40 offset1:175
	v_add_co_ci_u32_e32 v15, vcc_lo, v27, v5, vcc_lo
	ds_load_2addr_b64 v[4:7], v6 offset0:54 offset1:189
	v_lshlrev_b64 v[16:17], 3, v[24:25]
	v_add_nc_u32_e32 v24, 0xec4, v60
	v_add_co_u32 v18, vcc_lo, v26, v8
	v_add_co_ci_u32_e32 v19, vcc_lo, v27, v9, vcc_lo
	ds_load_2addr_b64 v[8:11], v10 offset0:68 offset1:203
	v_lshlrev_b64 v[20:21], 3, v[24:25]
	v_add_nc_u32_e32 v24, 0xf4b, v60
	v_add_co_u32 v16, vcc_lo, v26, v16
	v_add_co_ci_u32_e32 v17, vcc_lo, v27, v17, vcc_lo
	s_delay_alu instid0(VALU_DEP_3) | instskip(SKIP_2) | instid1(VALU_DEP_3)
	v_lshlrev_b64 v[22:23], 3, v[24:25]
	v_add_co_u32 v20, vcc_lo, v26, v20
	v_add_co_ci_u32_e32 v21, vcc_lo, v27, v21, vcc_lo
	v_add_co_u32 v22, vcc_lo, v26, v22
	s_delay_alu instid0(VALU_DEP_4)
	v_add_co_ci_u32_e32 v23, vcc_lo, v27, v23, vcc_lo
	s_waitcnt lgkmcnt(2)
	s_clause 0x1
	global_store_b64 v[12:13], v[0:1], off
	global_store_b64 v[14:15], v[2:3], off
	s_waitcnt lgkmcnt(1)
	s_clause 0x1
	global_store_b64 v[18:19], v[4:5], off
	global_store_b64 v[16:17], v[6:7], off
	;; [unrolled: 4-line block ×3, first 2 shown]
.LBB0_19:
	s_nop 0
	s_sendmsg sendmsg(MSG_DEALLOC_VGPRS)
	s_endpgm
	.section	.rodata,"a",@progbits
	.p2align	6, 0x0
	.amdhsa_kernel fft_rtc_back_len4050_factors_10_5_3_3_3_3_wgs_135_tpt_135_halfLds_sp_ip_CI_unitstride_sbrr_C2R_dirReg
		.amdhsa_group_segment_fixed_size 0
		.amdhsa_private_segment_fixed_size 0
		.amdhsa_kernarg_size 88
		.amdhsa_user_sgpr_count 15
		.amdhsa_user_sgpr_dispatch_ptr 0
		.amdhsa_user_sgpr_queue_ptr 0
		.amdhsa_user_sgpr_kernarg_segment_ptr 1
		.amdhsa_user_sgpr_dispatch_id 0
		.amdhsa_user_sgpr_private_segment_size 0
		.amdhsa_wavefront_size32 1
		.amdhsa_uses_dynamic_stack 0
		.amdhsa_enable_private_segment 0
		.amdhsa_system_sgpr_workgroup_id_x 1
		.amdhsa_system_sgpr_workgroup_id_y 0
		.amdhsa_system_sgpr_workgroup_id_z 0
		.amdhsa_system_sgpr_workgroup_info 0
		.amdhsa_system_vgpr_workitem_id 0
		.amdhsa_next_free_vgpr 180
		.amdhsa_next_free_sgpr 21
		.amdhsa_reserve_vcc 1
		.amdhsa_float_round_mode_32 0
		.amdhsa_float_round_mode_16_64 0
		.amdhsa_float_denorm_mode_32 3
		.amdhsa_float_denorm_mode_16_64 3
		.amdhsa_dx10_clamp 1
		.amdhsa_ieee_mode 1
		.amdhsa_fp16_overflow 0
		.amdhsa_workgroup_processor_mode 1
		.amdhsa_memory_ordered 1
		.amdhsa_forward_progress 0
		.amdhsa_shared_vgpr_count 0
		.amdhsa_exception_fp_ieee_invalid_op 0
		.amdhsa_exception_fp_denorm_src 0
		.amdhsa_exception_fp_ieee_div_zero 0
		.amdhsa_exception_fp_ieee_overflow 0
		.amdhsa_exception_fp_ieee_underflow 0
		.amdhsa_exception_fp_ieee_inexact 0
		.amdhsa_exception_int_div_zero 0
	.end_amdhsa_kernel
	.text
.Lfunc_end0:
	.size	fft_rtc_back_len4050_factors_10_5_3_3_3_3_wgs_135_tpt_135_halfLds_sp_ip_CI_unitstride_sbrr_C2R_dirReg, .Lfunc_end0-fft_rtc_back_len4050_factors_10_5_3_3_3_3_wgs_135_tpt_135_halfLds_sp_ip_CI_unitstride_sbrr_C2R_dirReg
                                        ; -- End function
	.section	.AMDGPU.csdata,"",@progbits
; Kernel info:
; codeLenInByte = 21472
; NumSgprs: 23
; NumVgprs: 180
; ScratchSize: 0
; MemoryBound: 0
; FloatMode: 240
; IeeeMode: 1
; LDSByteSize: 0 bytes/workgroup (compile time only)
; SGPRBlocks: 2
; VGPRBlocks: 22
; NumSGPRsForWavesPerEU: 23
; NumVGPRsForWavesPerEU: 180
; Occupancy: 8
; WaveLimiterHint : 1
; COMPUTE_PGM_RSRC2:SCRATCH_EN: 0
; COMPUTE_PGM_RSRC2:USER_SGPR: 15
; COMPUTE_PGM_RSRC2:TRAP_HANDLER: 0
; COMPUTE_PGM_RSRC2:TGID_X_EN: 1
; COMPUTE_PGM_RSRC2:TGID_Y_EN: 0
; COMPUTE_PGM_RSRC2:TGID_Z_EN: 0
; COMPUTE_PGM_RSRC2:TIDIG_COMP_CNT: 0
	.text
	.p2alignl 7, 3214868480
	.fill 96, 4, 3214868480
	.type	__hip_cuid_1e22489ba2e27a66,@object ; @__hip_cuid_1e22489ba2e27a66
	.section	.bss,"aw",@nobits
	.globl	__hip_cuid_1e22489ba2e27a66
__hip_cuid_1e22489ba2e27a66:
	.byte	0                               ; 0x0
	.size	__hip_cuid_1e22489ba2e27a66, 1

	.ident	"AMD clang version 19.0.0git (https://github.com/RadeonOpenCompute/llvm-project roc-6.4.0 25133 c7fe45cf4b819c5991fe208aaa96edf142730f1d)"
	.section	".note.GNU-stack","",@progbits
	.addrsig
	.addrsig_sym __hip_cuid_1e22489ba2e27a66
	.amdgpu_metadata
---
amdhsa.kernels:
  - .args:
      - .actual_access:  read_only
        .address_space:  global
        .offset:         0
        .size:           8
        .value_kind:     global_buffer
      - .offset:         8
        .size:           8
        .value_kind:     by_value
      - .actual_access:  read_only
        .address_space:  global
        .offset:         16
        .size:           8
        .value_kind:     global_buffer
      - .actual_access:  read_only
        .address_space:  global
        .offset:         24
        .size:           8
        .value_kind:     global_buffer
      - .offset:         32
        .size:           8
        .value_kind:     by_value
      - .actual_access:  read_only
        .address_space:  global
        .offset:         40
        .size:           8
        .value_kind:     global_buffer
      - .actual_access:  read_only
        .address_space:  global
        .offset:         48
        .size:           8
        .value_kind:     global_buffer
      - .offset:         56
        .size:           4
        .value_kind:     by_value
      - .actual_access:  read_only
        .address_space:  global
        .offset:         64
        .size:           8
        .value_kind:     global_buffer
      - .actual_access:  read_only
        .address_space:  global
        .offset:         72
        .size:           8
        .value_kind:     global_buffer
      - .address_space:  global
        .offset:         80
        .size:           8
        .value_kind:     global_buffer
    .group_segment_fixed_size: 0
    .kernarg_segment_align: 8
    .kernarg_segment_size: 88
    .language:       OpenCL C
    .language_version:
      - 2
      - 0
    .max_flat_workgroup_size: 135
    .name:           fft_rtc_back_len4050_factors_10_5_3_3_3_3_wgs_135_tpt_135_halfLds_sp_ip_CI_unitstride_sbrr_C2R_dirReg
    .private_segment_fixed_size: 0
    .sgpr_count:     23
    .sgpr_spill_count: 0
    .symbol:         fft_rtc_back_len4050_factors_10_5_3_3_3_3_wgs_135_tpt_135_halfLds_sp_ip_CI_unitstride_sbrr_C2R_dirReg.kd
    .uniform_work_group_size: 1
    .uses_dynamic_stack: false
    .vgpr_count:     180
    .vgpr_spill_count: 0
    .wavefront_size: 32
    .workgroup_processor_mode: 1
amdhsa.target:   amdgcn-amd-amdhsa--gfx1100
amdhsa.version:
  - 1
  - 2
...

	.end_amdgpu_metadata
